;; amdgpu-corpus repo=ROCm/rocFFT kind=compiled arch=gfx1201 opt=O3
	.text
	.amdgcn_target "amdgcn-amd-amdhsa--gfx1201"
	.amdhsa_code_object_version 6
	.protected	fft_rtc_back_len1360_factors_17_5_16_wgs_255_tpt_85_halfLds_dp_ip_CI_sbrr_dirReg ; -- Begin function fft_rtc_back_len1360_factors_17_5_16_wgs_255_tpt_85_halfLds_dp_ip_CI_sbrr_dirReg
	.globl	fft_rtc_back_len1360_factors_17_5_16_wgs_255_tpt_85_halfLds_dp_ip_CI_sbrr_dirReg
	.p2align	8
	.type	fft_rtc_back_len1360_factors_17_5_16_wgs_255_tpt_85_halfLds_dp_ip_CI_sbrr_dirReg,@function
fft_rtc_back_len1360_factors_17_5_16_wgs_255_tpt_85_halfLds_dp_ip_CI_sbrr_dirReg: ; @fft_rtc_back_len1360_factors_17_5_16_wgs_255_tpt_85_halfLds_dp_ip_CI_sbrr_dirReg
; %bb.0:
	s_clause 0x1
	s_load_b64 s[12:13], s[0:1], 0x18
	s_load_b128 s[4:7], s[0:1], 0x0
	v_mul_u32_u24_e32 v1, 0x304, v0
	v_mov_b32_e32 v3, 0
	s_load_b64 s[10:11], s[0:1], 0x50
	s_wait_kmcnt 0x0
	s_load_b64 s[8:9], s[12:13], 0x0
	v_lshrrev_b32_e32 v1, 16, v1
	v_cmp_lt_u64_e64 s2, s[6:7], 2
	s_delay_alu instid0(VALU_DEP_2) | instskip(SKIP_2) | instid1(VALU_DEP_4)
	v_mad_co_u64_u32 v[72:73], null, ttmp9, 3, v[1:2]
	v_mov_b32_e32 v1, 0
	v_dual_mov_b32 v2, 0 :: v_dual_mov_b32 v73, v3
	s_and_b32 vcc_lo, exec_lo, s2
	s_delay_alu instid0(VALU_DEP_1)
	v_dual_mov_b32 v7, v72 :: v_dual_mov_b32 v8, v73
	s_cbranch_vccnz .LBB0_8
; %bb.1:
	s_load_b64 s[2:3], s[0:1], 0x10
	v_mov_b32_e32 v1, 0
	v_dual_mov_b32 v2, 0 :: v_dual_mov_b32 v5, v72
	v_mov_b32_e32 v6, v73
	s_add_nc_u64 s[14:15], s[12:13], 8
	s_mov_b64 s[16:17], 1
	s_wait_kmcnt 0x0
	s_add_nc_u64 s[18:19], s[2:3], 8
	s_mov_b32 s3, 0
.LBB0_2:                                ; =>This Inner Loop Header: Depth=1
	s_load_b64 s[20:21], s[18:19], 0x0
                                        ; implicit-def: $vgpr7_vgpr8
	s_mov_b32 s2, exec_lo
	s_wait_kmcnt 0x0
	v_or_b32_e32 v4, s21, v6
	s_delay_alu instid0(VALU_DEP_1)
	v_cmpx_ne_u64_e32 0, v[3:4]
	s_wait_alu 0xfffe
	s_xor_b32 s22, exec_lo, s2
	s_cbranch_execz .LBB0_4
; %bb.3:                                ;   in Loop: Header=BB0_2 Depth=1
	s_cvt_f32_u32 s2, s20
	s_cvt_f32_u32 s23, s21
	s_sub_nc_u64 s[26:27], 0, s[20:21]
	s_wait_alu 0xfffe
	s_delay_alu instid0(SALU_CYCLE_1) | instskip(SKIP_1) | instid1(SALU_CYCLE_2)
	s_fmamk_f32 s2, s23, 0x4f800000, s2
	s_wait_alu 0xfffe
	v_s_rcp_f32 s2, s2
	s_delay_alu instid0(TRANS32_DEP_1) | instskip(SKIP_1) | instid1(SALU_CYCLE_2)
	s_mul_f32 s2, s2, 0x5f7ffffc
	s_wait_alu 0xfffe
	s_mul_f32 s23, s2, 0x2f800000
	s_wait_alu 0xfffe
	s_delay_alu instid0(SALU_CYCLE_2) | instskip(SKIP_1) | instid1(SALU_CYCLE_2)
	s_trunc_f32 s23, s23
	s_wait_alu 0xfffe
	s_fmamk_f32 s2, s23, 0xcf800000, s2
	s_cvt_u32_f32 s25, s23
	s_wait_alu 0xfffe
	s_delay_alu instid0(SALU_CYCLE_1) | instskip(SKIP_1) | instid1(SALU_CYCLE_2)
	s_cvt_u32_f32 s24, s2
	s_wait_alu 0xfffe
	s_mul_u64 s[28:29], s[26:27], s[24:25]
	s_wait_alu 0xfffe
	s_mul_hi_u32 s31, s24, s29
	s_mul_i32 s30, s24, s29
	s_mul_hi_u32 s2, s24, s28
	s_mul_i32 s33, s25, s28
	s_wait_alu 0xfffe
	s_add_nc_u64 s[30:31], s[2:3], s[30:31]
	s_mul_hi_u32 s23, s25, s28
	s_mul_hi_u32 s34, s25, s29
	s_add_co_u32 s2, s30, s33
	s_wait_alu 0xfffe
	s_add_co_ci_u32 s2, s31, s23
	s_mul_i32 s28, s25, s29
	s_add_co_ci_u32 s29, s34, 0
	s_wait_alu 0xfffe
	s_add_nc_u64 s[28:29], s[2:3], s[28:29]
	s_wait_alu 0xfffe
	v_add_co_u32 v4, s2, s24, s28
	s_delay_alu instid0(VALU_DEP_1) | instskip(SKIP_1) | instid1(VALU_DEP_1)
	s_cmp_lg_u32 s2, 0
	s_add_co_ci_u32 s25, s25, s29
	v_readfirstlane_b32 s24, v4
	s_wait_alu 0xfffe
	s_delay_alu instid0(VALU_DEP_1)
	s_mul_u64 s[26:27], s[26:27], s[24:25]
	s_wait_alu 0xfffe
	s_mul_hi_u32 s29, s24, s27
	s_mul_i32 s28, s24, s27
	s_mul_hi_u32 s2, s24, s26
	s_mul_i32 s30, s25, s26
	s_wait_alu 0xfffe
	s_add_nc_u64 s[28:29], s[2:3], s[28:29]
	s_mul_hi_u32 s23, s25, s26
	s_mul_hi_u32 s24, s25, s27
	s_wait_alu 0xfffe
	s_add_co_u32 s2, s28, s30
	s_add_co_ci_u32 s2, s29, s23
	s_mul_i32 s26, s25, s27
	s_add_co_ci_u32 s27, s24, 0
	s_wait_alu 0xfffe
	s_add_nc_u64 s[26:27], s[2:3], s[26:27]
	s_wait_alu 0xfffe
	v_add_co_u32 v4, s2, v4, s26
	s_delay_alu instid0(VALU_DEP_1) | instskip(SKIP_1) | instid1(VALU_DEP_1)
	s_cmp_lg_u32 s2, 0
	s_add_co_ci_u32 s2, s25, s27
	v_mul_hi_u32 v13, v5, v4
	s_wait_alu 0xfffe
	v_mad_co_u64_u32 v[7:8], null, v5, s2, 0
	v_mad_co_u64_u32 v[9:10], null, v6, v4, 0
	;; [unrolled: 1-line block ×3, first 2 shown]
	s_delay_alu instid0(VALU_DEP_3) | instskip(SKIP_1) | instid1(VALU_DEP_4)
	v_add_co_u32 v4, vcc_lo, v13, v7
	s_wait_alu 0xfffd
	v_add_co_ci_u32_e32 v7, vcc_lo, 0, v8, vcc_lo
	s_delay_alu instid0(VALU_DEP_2) | instskip(SKIP_1) | instid1(VALU_DEP_2)
	v_add_co_u32 v4, vcc_lo, v4, v9
	s_wait_alu 0xfffd
	v_add_co_ci_u32_e32 v4, vcc_lo, v7, v10, vcc_lo
	s_wait_alu 0xfffd
	v_add_co_ci_u32_e32 v7, vcc_lo, 0, v12, vcc_lo
	s_delay_alu instid0(VALU_DEP_2) | instskip(SKIP_1) | instid1(VALU_DEP_2)
	v_add_co_u32 v4, vcc_lo, v4, v11
	s_wait_alu 0xfffd
	v_add_co_ci_u32_e32 v9, vcc_lo, 0, v7, vcc_lo
	s_delay_alu instid0(VALU_DEP_2) | instskip(SKIP_1) | instid1(VALU_DEP_3)
	v_mul_lo_u32 v10, s21, v4
	v_mad_co_u64_u32 v[7:8], null, s20, v4, 0
	v_mul_lo_u32 v11, s20, v9
	s_delay_alu instid0(VALU_DEP_2) | instskip(NEXT) | instid1(VALU_DEP_2)
	v_sub_co_u32 v7, vcc_lo, v5, v7
	v_add3_u32 v8, v8, v11, v10
	s_delay_alu instid0(VALU_DEP_1) | instskip(SKIP_1) | instid1(VALU_DEP_1)
	v_sub_nc_u32_e32 v10, v6, v8
	s_wait_alu 0xfffd
	v_subrev_co_ci_u32_e64 v10, s2, s21, v10, vcc_lo
	v_add_co_u32 v11, s2, v4, 2
	s_wait_alu 0xf1ff
	v_add_co_ci_u32_e64 v12, s2, 0, v9, s2
	v_sub_co_u32 v13, s2, v7, s20
	v_sub_co_ci_u32_e32 v8, vcc_lo, v6, v8, vcc_lo
	s_wait_alu 0xf1ff
	v_subrev_co_ci_u32_e64 v10, s2, 0, v10, s2
	s_delay_alu instid0(VALU_DEP_3) | instskip(NEXT) | instid1(VALU_DEP_3)
	v_cmp_le_u32_e32 vcc_lo, s20, v13
	v_cmp_eq_u32_e64 s2, s21, v8
	s_wait_alu 0xfffd
	v_cndmask_b32_e64 v13, 0, -1, vcc_lo
	v_cmp_le_u32_e32 vcc_lo, s21, v10
	s_wait_alu 0xfffd
	v_cndmask_b32_e64 v14, 0, -1, vcc_lo
	v_cmp_le_u32_e32 vcc_lo, s20, v7
	;; [unrolled: 3-line block ×3, first 2 shown]
	s_wait_alu 0xfffd
	v_cndmask_b32_e64 v15, 0, -1, vcc_lo
	v_cmp_eq_u32_e32 vcc_lo, s21, v10
	s_wait_alu 0xf1ff
	s_delay_alu instid0(VALU_DEP_2)
	v_cndmask_b32_e64 v7, v15, v7, s2
	s_wait_alu 0xfffd
	v_cndmask_b32_e32 v10, v14, v13, vcc_lo
	v_add_co_u32 v13, vcc_lo, v4, 1
	s_wait_alu 0xfffd
	v_add_co_ci_u32_e32 v14, vcc_lo, 0, v9, vcc_lo
	s_delay_alu instid0(VALU_DEP_3) | instskip(SKIP_2) | instid1(VALU_DEP_3)
	v_cmp_ne_u32_e32 vcc_lo, 0, v10
	s_wait_alu 0xfffd
	v_cndmask_b32_e32 v10, v13, v11, vcc_lo
	v_cndmask_b32_e32 v8, v14, v12, vcc_lo
	v_cmp_ne_u32_e32 vcc_lo, 0, v7
	s_wait_alu 0xfffd
	s_delay_alu instid0(VALU_DEP_2)
	v_dual_cndmask_b32 v7, v4, v10 :: v_dual_cndmask_b32 v8, v9, v8
.LBB0_4:                                ;   in Loop: Header=BB0_2 Depth=1
	s_wait_alu 0xfffe
	s_and_not1_saveexec_b32 s2, s22
	s_cbranch_execz .LBB0_6
; %bb.5:                                ;   in Loop: Header=BB0_2 Depth=1
	v_cvt_f32_u32_e32 v4, s20
	s_sub_co_i32 s22, 0, s20
	s_delay_alu instid0(VALU_DEP_1) | instskip(NEXT) | instid1(TRANS32_DEP_1)
	v_rcp_iflag_f32_e32 v4, v4
	v_mul_f32_e32 v4, 0x4f7ffffe, v4
	s_delay_alu instid0(VALU_DEP_1) | instskip(SKIP_1) | instid1(VALU_DEP_1)
	v_cvt_u32_f32_e32 v4, v4
	s_wait_alu 0xfffe
	v_mul_lo_u32 v7, s22, v4
	s_delay_alu instid0(VALU_DEP_1) | instskip(NEXT) | instid1(VALU_DEP_1)
	v_mul_hi_u32 v7, v4, v7
	v_add_nc_u32_e32 v4, v4, v7
	s_delay_alu instid0(VALU_DEP_1) | instskip(NEXT) | instid1(VALU_DEP_1)
	v_mul_hi_u32 v4, v5, v4
	v_mul_lo_u32 v7, v4, s20
	v_add_nc_u32_e32 v8, 1, v4
	s_delay_alu instid0(VALU_DEP_2) | instskip(NEXT) | instid1(VALU_DEP_1)
	v_sub_nc_u32_e32 v7, v5, v7
	v_subrev_nc_u32_e32 v9, s20, v7
	v_cmp_le_u32_e32 vcc_lo, s20, v7
	s_wait_alu 0xfffd
	s_delay_alu instid0(VALU_DEP_2) | instskip(NEXT) | instid1(VALU_DEP_1)
	v_dual_cndmask_b32 v7, v7, v9 :: v_dual_cndmask_b32 v4, v4, v8
	v_cmp_le_u32_e32 vcc_lo, s20, v7
	s_delay_alu instid0(VALU_DEP_2) | instskip(SKIP_1) | instid1(VALU_DEP_1)
	v_add_nc_u32_e32 v8, 1, v4
	s_wait_alu 0xfffd
	v_dual_cndmask_b32 v7, v4, v8 :: v_dual_mov_b32 v8, v3
.LBB0_6:                                ;   in Loop: Header=BB0_2 Depth=1
	s_wait_alu 0xfffe
	s_or_b32 exec_lo, exec_lo, s2
	s_load_b64 s[22:23], s[14:15], 0x0
	s_delay_alu instid0(VALU_DEP_1)
	v_mul_lo_u32 v4, v8, s20
	v_mul_lo_u32 v11, v7, s21
	v_mad_co_u64_u32 v[9:10], null, v7, s20, 0
	s_add_nc_u64 s[16:17], s[16:17], 1
	s_add_nc_u64 s[14:15], s[14:15], 8
	s_wait_alu 0xfffe
	v_cmp_ge_u64_e64 s2, s[16:17], s[6:7]
	s_add_nc_u64 s[18:19], s[18:19], 8
	s_delay_alu instid0(VALU_DEP_2) | instskip(NEXT) | instid1(VALU_DEP_3)
	v_add3_u32 v4, v10, v11, v4
	v_sub_co_u32 v5, vcc_lo, v5, v9
	s_wait_alu 0xfffd
	s_delay_alu instid0(VALU_DEP_2) | instskip(SKIP_3) | instid1(VALU_DEP_2)
	v_sub_co_ci_u32_e32 v4, vcc_lo, v6, v4, vcc_lo
	s_and_b32 vcc_lo, exec_lo, s2
	s_wait_kmcnt 0x0
	v_mul_lo_u32 v6, s23, v5
	v_mul_lo_u32 v4, s22, v4
	v_mad_co_u64_u32 v[1:2], null, s22, v5, v[1:2]
	s_delay_alu instid0(VALU_DEP_1)
	v_add3_u32 v2, v6, v2, v4
	s_wait_alu 0xfffe
	s_cbranch_vccnz .LBB0_8
; %bb.7:                                ;   in Loop: Header=BB0_2 Depth=1
	v_dual_mov_b32 v5, v7 :: v_dual_mov_b32 v6, v8
	s_branch .LBB0_2
.LBB0_8:
	s_lshl_b64 s[2:3], s[6:7], 3
	v_mul_hi_u32 v3, 0x3030304, v0
	s_wait_alu 0xfffe
	s_add_nc_u64 s[2:3], s[12:13], s[2:3]
	v_mov_b32_e32 v148, 0
	s_load_b64 s[2:3], s[2:3], 0x0
	s_load_b64 s[0:1], s[0:1], 0x20
                                        ; implicit-def: $vgpr30_vgpr31
                                        ; implicit-def: $vgpr42_vgpr43
                                        ; implicit-def: $vgpr46_vgpr47
                                        ; implicit-def: $vgpr50_vgpr51
                                        ; implicit-def: $vgpr54_vgpr55
                                        ; implicit-def: $vgpr62_vgpr63
                                        ; implicit-def: $vgpr58_vgpr59
                                        ; implicit-def: $vgpr38_vgpr39
                                        ; implicit-def: $vgpr26_vgpr27
                                        ; implicit-def: $vgpr22_vgpr23
                                        ; implicit-def: $vgpr18_vgpr19
                                        ; implicit-def: $vgpr10_vgpr11
                                        ; implicit-def: $vgpr34_vgpr35
                                        ; implicit-def: $vgpr66_vgpr67
                                        ; implicit-def: $vgpr14_vgpr15
	s_wait_kmcnt 0x0
	v_mul_lo_u32 v4, s2, v8
	v_mul_lo_u32 v5, s3, v7
	v_mad_co_u64_u32 v[96:97], null, s2, v7, v[1:2]
	v_mul_u32_u24_e32 v1, 0x55, v3
	v_cmp_gt_u64_e32 vcc_lo, s[0:1], v[7:8]
                                        ; implicit-def: $vgpr2_vgpr3
                                        ; implicit-def: $vgpr6_vgpr7
	s_delay_alu instid0(VALU_DEP_2) | instskip(NEXT) | instid1(VALU_DEP_4)
	v_sub_nc_u32_e32 v149, v0, v1
	v_add3_u32 v97, v5, v97, v4
	s_and_saveexec_b32 s1, vcc_lo
	s_cbranch_execz .LBB0_12
; %bb.9:
	s_mov_b32 s2, exec_lo
                                        ; implicit-def: $vgpr12_vgpr13
                                        ; implicit-def: $vgpr64_vgpr65
                                        ; implicit-def: $vgpr32_vgpr33
                                        ; implicit-def: $vgpr4_vgpr5
                                        ; implicit-def: $vgpr0_vgpr1
                                        ; implicit-def: $vgpr8_vgpr9
                                        ; implicit-def: $vgpr16_vgpr17
                                        ; implicit-def: $vgpr20_vgpr21
                                        ; implicit-def: $vgpr24_vgpr25
                                        ; implicit-def: $vgpr36_vgpr37
                                        ; implicit-def: $vgpr56_vgpr57
                                        ; implicit-def: $vgpr60_vgpr61
                                        ; implicit-def: $vgpr52_vgpr53
                                        ; implicit-def: $vgpr48_vgpr49
                                        ; implicit-def: $vgpr44_vgpr45
                                        ; implicit-def: $vgpr40_vgpr41
                                        ; implicit-def: $vgpr28_vgpr29
	v_cmpx_gt_u32_e32 0x50, v149
	s_cbranch_execz .LBB0_11
; %bb.10:
	v_add_nc_u32_e32 v7, 0x50, v149
	v_mad_co_u64_u32 v[0:1], null, s8, v149, 0
	v_add_nc_u32_e32 v13, 0xf0, v149
	v_add_nc_u32_e32 v17, 0x190, v149
	s_delay_alu instid0(VALU_DEP_4) | instskip(SKIP_1) | instid1(VALU_DEP_4)
	v_mad_co_u64_u32 v[2:3], null, s8, v7, 0
	v_add_nc_u32_e32 v12, 0xa0, v149
	v_mad_co_u64_u32 v[10:11], null, s8, v13, 0
	v_add_nc_u32_e32 v20, 0x230, v149
	v_or_b32_e32 v68, 0x500, v149
	v_add_nc_u32_e32 v16, 0x140, v149
	v_mad_co_u64_u32 v[4:5], null, s9, v149, v[1:2]
	v_mov_b32_e32 v1, v3
	v_mad_co_u64_u32 v[5:6], null, s8, v12, 0
	v_add_nc_u32_e32 v23, 0x4b0, v149
	s_delay_alu instid0(VALU_DEP_3) | instskip(SKIP_1) | instid1(VALU_DEP_4)
	v_mad_co_u64_u32 v[7:8], null, s9, v7, v[1:2]
	v_lshlrev_b64_e32 v[8:9], 4, v[96:97]
	v_dual_mov_b32 v1, v4 :: v_dual_mov_b32 v4, v6
	s_delay_alu instid0(VALU_DEP_3) | instskip(NEXT) | instid1(VALU_DEP_2)
	v_mov_b32_e32 v3, v7
	v_lshlrev_b64_e32 v[0:1], 4, v[0:1]
	s_delay_alu instid0(VALU_DEP_4) | instskip(SKIP_3) | instid1(VALU_DEP_3)
	v_add_co_u32 v21, s0, s10, v8
	s_wait_alu 0xf1ff
	v_add_co_ci_u32_e64 v22, s0, s11, v9, s0
	v_lshlrev_b64_e32 v[2:3], 4, v[2:3]
	v_add_co_u32 v0, s0, v21, v0
	s_wait_alu 0xf1ff
	s_delay_alu instid0(VALU_DEP_3) | instskip(SKIP_1) | instid1(VALU_DEP_4)
	v_add_co_ci_u32_e64 v1, s0, v22, v1, s0
	v_mad_co_u64_u32 v[6:7], null, s9, v12, v[4:5]
	v_add_co_u32 v2, s0, v21, v2
	v_mov_b32_e32 v4, v11
	v_mad_co_u64_u32 v[7:8], null, s8, v16, 0
	s_wait_alu 0xf1ff
	v_add_co_ci_u32_e64 v3, s0, v22, v3, s0
	s_delay_alu instid0(VALU_DEP_3)
	v_mad_co_u64_u32 v[11:12], null, s9, v13, v[4:5]
	s_clause 0x1
	global_load_b128 v[12:15], v[0:1], off
	global_load_b128 v[28:31], v[2:3], off
	v_mad_co_u64_u32 v[3:4], null, s8, v17, 0
	v_mov_b32_e32 v2, v8
	v_lshlrev_b64_e32 v[0:1], 4, v[5:6]
	v_lshlrev_b64_e32 v[9:10], 4, v[10:11]
	s_delay_alu instid0(VALU_DEP_3) | instskip(SKIP_1) | instid1(VALU_DEP_4)
	v_mad_co_u64_u32 v[5:6], null, s9, v16, v[2:3]
	v_dual_mov_b32 v2, v4 :: v_dual_add_nc_u32 v11, 0x1e0, v149
	v_add_co_u32 v0, s0, v21, v0
	s_wait_alu 0xf1ff
	v_add_co_ci_u32_e64 v1, s0, v22, v1, s0
	s_delay_alu instid0(VALU_DEP_4) | instskip(SKIP_2) | instid1(VALU_DEP_3)
	v_mov_b32_e32 v8, v5
	v_mad_co_u64_u32 v[4:5], null, s9, v17, v[2:3]
	v_mad_co_u64_u32 v[5:6], null, s8, v11, 0
	v_lshlrev_b64_e32 v[7:8], 4, v[7:8]
	v_mad_co_u64_u32 v[16:17], null, s8, v20, 0
	v_add_co_u32 v9, s0, v21, v9
	v_lshlrev_b64_e32 v[3:4], 4, v[3:4]
	v_mov_b32_e32 v2, v6
	s_wait_alu 0xf1ff
	v_add_co_ci_u32_e64 v10, s0, v22, v10, s0
	v_add_co_u32 v7, s0, v21, v7
	s_delay_alu instid0(VALU_DEP_3)
	v_mad_co_u64_u32 v[18:19], null, s9, v11, v[2:3]
	s_wait_alu 0xf1ff
	v_add_co_ci_u32_e64 v8, s0, v22, v8, s0
	v_mov_b32_e32 v2, v17
	v_add_co_u32 v3, s0, v21, v3
	v_or_b32_e32 v11, 0x280, v149
	s_wait_alu 0xf1ff
	v_add_co_ci_u32_e64 v4, s0, v22, v4, s0
	v_mov_b32_e32 v6, v18
	v_mad_co_u64_u32 v[17:18], null, s9, v20, v[2:3]
	v_mad_co_u64_u32 v[18:19], null, s8, v11, 0
	s_clause 0x3
	global_load_b128 v[40:43], v[0:1], off
	global_load_b128 v[44:47], v[9:10], off
	global_load_b128 v[48:51], v[7:8], off
	global_load_b128 v[52:55], v[3:4], off
	v_add_nc_u32_e32 v10, 0x2d0, v149
	v_lshlrev_b64_e32 v[0:1], 4, v[5:6]
	v_add_nc_u32_e32 v20, 0x370, v149
	v_lshlrev_b64_e32 v[5:6], 4, v[16:17]
	v_add_nc_u32_e32 v16, 0x320, v149
	v_mad_co_u64_u32 v[3:4], null, s8, v10, 0
	v_mov_b32_e32 v2, v19
	v_add_co_u32 v0, s0, v21, v0
	s_wait_alu 0xf1ff
	v_add_co_ci_u32_e64 v1, s0, v22, v1, s0
	s_delay_alu instid0(VALU_DEP_3)
	v_mad_co_u64_u32 v[7:8], null, s9, v11, v[2:3]
	v_mov_b32_e32 v2, v4
	v_add_co_u32 v4, s0, v21, v5
	v_mad_co_u64_u32 v[8:9], null, s8, v16, 0
	s_wait_alu 0xf1ff
	v_add_co_ci_u32_e64 v5, s0, v22, v6, s0
	v_mov_b32_e32 v19, v7
	v_mad_co_u64_u32 v[6:7], null, s9, v10, v[2:3]
	v_mad_co_u64_u32 v[10:11], null, s8, v20, 0
	v_mov_b32_e32 v2, v9
	s_clause 0x1
	global_load_b128 v[64:67], v[0:1], off
	global_load_b128 v[60:63], v[4:5], off
	v_lshlrev_b64_e32 v[0:1], 4, v[18:19]
	v_add_nc_u32_e32 v18, 0x410, v149
	v_mov_b32_e32 v4, v6
	v_mad_co_u64_u32 v[16:17], null, s9, v16, v[2:3]
	v_mov_b32_e32 v2, v11
	v_add_co_u32 v0, s0, v21, v0
	s_delay_alu instid0(VALU_DEP_4) | instskip(SKIP_3) | instid1(VALU_DEP_3)
	v_lshlrev_b64_e32 v[3:4], 4, v[3:4]
	s_wait_alu 0xf1ff
	v_add_co_ci_u32_e64 v1, s0, v22, v1, s0
	v_dual_mov_b32 v9, v16 :: v_dual_add_nc_u32 v16, 0x3c0, v149
	v_mad_co_u64_u32 v[5:6], null, s9, v20, v[2:3]
	s_delay_alu instid0(VALU_DEP_2) | instskip(NEXT) | instid1(VALU_DEP_3)
	v_lshlrev_b64_e32 v[6:7], 4, v[8:9]
	v_mad_co_u64_u32 v[8:9], null, s8, v16, 0
	v_add_co_u32 v2, s0, v21, v3
	s_wait_alu 0xf1ff
	v_add_co_ci_u32_e64 v3, s0, v22, v4, s0
	v_mov_b32_e32 v11, v5
	s_clause 0x1
	global_load_b128 v[56:59], v[0:1], off
	global_load_b128 v[32:35], v[2:3], off
	v_mov_b32_e32 v2, v9
	v_add_nc_u32_e32 v20, 0x460, v149
	v_lshlrev_b64_e32 v[3:4], 4, v[10:11]
	v_add_co_u32 v0, s0, v21, v6
	s_wait_alu 0xf1ff
	v_add_co_ci_u32_e64 v1, s0, v22, v7, s0
	v_mad_co_u64_u32 v[10:11], null, s8, v20, 0
	s_delay_alu instid0(VALU_DEP_4) | instskip(SKIP_4) | instid1(VALU_DEP_4)
	v_mad_co_u64_u32 v[5:6], null, s9, v16, v[2:3]
	v_mad_co_u64_u32 v[6:7], null, s8, v18, 0
	v_add_co_u32 v2, s0, v21, v3
	s_wait_alu 0xf1ff
	v_add_co_ci_u32_e64 v3, s0, v22, v4, s0
	v_mov_b32_e32 v9, v5
	s_delay_alu instid0(VALU_DEP_4)
	v_dual_mov_b32 v5, v11 :: v_dual_mov_b32 v4, v7
	v_mad_co_u64_u32 v[16:17], null, s8, v23, 0
	s_clause 0x1
	global_load_b128 v[36:39], v[0:1], off
	global_load_b128 v[24:27], v[2:3], off
	v_lshlrev_b64_e32 v[1:2], 4, v[8:9]
	v_mad_co_u64_u32 v[18:19], null, s9, v18, v[4:5]
	v_mad_co_u64_u32 v[4:5], null, s9, v20, v[5:6]
	;; [unrolled: 1-line block ×3, first 2 shown]
	s_delay_alu instid0(VALU_DEP_3) | instskip(NEXT) | instid1(VALU_DEP_3)
	v_dual_mov_b32 v0, v17 :: v_dual_mov_b32 v7, v18
	v_mov_b32_e32 v11, v4
	s_delay_alu instid0(VALU_DEP_2) | instskip(NEXT) | instid1(VALU_DEP_4)
	v_mad_co_u64_u32 v[3:4], null, s9, v23, v[0:1]
	v_mov_b32_e32 v0, v20
	v_add_co_u32 v1, s0, v21, v1
	v_lshlrev_b64_e32 v[4:5], 4, v[6:7]
	s_wait_alu 0xf1ff
	v_add_co_ci_u32_e64 v2, s0, v22, v2, s0
	s_delay_alu instid0(VALU_DEP_3)
	v_mad_co_u64_u32 v[6:7], null, s9, v68, v[0:1]
	v_lshlrev_b64_e32 v[7:8], 4, v[10:11]
	v_mov_b32_e32 v17, v3
	v_add_co_u32 v3, s0, v21, v4
	s_wait_alu 0xf1ff
	v_add_co_ci_u32_e64 v4, s0, v22, v5, s0
	v_mov_b32_e32 v20, v6
	v_lshlrev_b64_e32 v[9:10], 4, v[16:17]
	v_add_co_u32 v5, s0, v21, v7
	s_wait_alu 0xf1ff
	v_add_co_ci_u32_e64 v6, s0, v22, v8, s0
	v_lshlrev_b64_e32 v[7:8], 4, v[19:20]
	s_delay_alu instid0(VALU_DEP_4) | instskip(SKIP_2) | instid1(VALU_DEP_3)
	v_add_co_u32 v68, s0, v21, v9
	s_wait_alu 0xf1ff
	v_add_co_ci_u32_e64 v69, s0, v22, v10, s0
	v_add_co_u32 v70, s0, v21, v7
	s_wait_alu 0xf1ff
	v_add_co_ci_u32_e64 v71, s0, v22, v8, s0
	s_clause 0x4
	global_load_b128 v[20:23], v[1:2], off
	global_load_b128 v[16:19], v[3:4], off
	;; [unrolled: 1-line block ×5, first 2 shown]
.LBB0_11:
	s_wait_alu 0xfffe
	s_or_b32 exec_lo, exec_lo, s2
	v_mov_b32_e32 v148, v149
.LBB0_12:
	s_wait_alu 0xfffe
	s_or_b32 exec_lo, exec_lo, s1
	s_wait_loadcnt 0x0
	v_add_f64_e64 v[68:69], v[30:31], -v[2:3]
	s_mov_b32 s2, 0x5d8e7cdc
	s_mov_b32 s6, 0x2a9d6da3
	s_mov_b32 s3, 0xbfd71e95
	s_mov_b32 s7, 0xbfe58eea
	v_add_f64_e32 v[75:76], v[28:29], v[0:1]
	v_add_f64_e64 v[70:71], v[42:43], -v[6:7]
	s_mov_b32 s16, 0x370991
	s_mov_b32 s18, 0x75d4884
	s_mov_b32 s12, 0xeb564b22
	s_mov_b32 s17, 0x3fedd6d0
	s_mov_b32 s19, 0x3fe7a5f6
	s_mov_b32 s13, 0xbfefdd0d
	v_add_f64_e32 v[79:80], v[40:41], v[4:5]
	v_add_f64_e64 v[73:74], v[46:47], -v[10:11]
	s_mov_b32 s20, 0x3259b75e
	s_mov_b32 s28, 0x7c9e640b
	;; [unrolled: 8-line block ×3, first 2 shown]
	s_mov_b32 s22, 0xacd6c6b4
	s_mov_b32 s31, 0x3fdc86fa
	;; [unrolled: 1-line block ×4, first 2 shown]
	v_add_f64_e32 v[91:92], v[48:49], v[16:17]
	s_mov_b32 s40, 0x7faef3
	s_mov_b32 s26, 0x923c349f
	;; [unrolled: 1-line block ×6, first 2 shown]
	v_add_f64_e32 v[106:107], v[52:53], v[20:21]
	s_mov_b32 s48, 0xc61f0d01
	s_wait_alu 0xfffe
	v_mul_f64_e32 v[83:84], s[2:3], v[68:69]
	v_mul_f64_e32 v[102:103], s[6:7], v[68:69]
	s_mov_b32 s46, 0x910ea3b9
	s_mov_b32 s49, 0xbfd183b1
	;; [unrolled: 1-line block ×4, first 2 shown]
	v_mul_f64_e32 v[89:90], s[6:7], v[70:71]
	v_mul_f64_e32 v[110:111], s[12:13], v[70:71]
	s_mov_b32 s36, s26
	s_mov_b32 s45, 0xbfe0d888
	;; [unrolled: 1-line block ×6, first 2 shown]
	v_mul_f64_e32 v[108:109], s[28:29], v[73:74]
	v_mul_f64_e32 v[118:119], s[14:15], v[73:74]
	s_mov_b32 s42, s2
	v_mul_hi_u32 v95, 0xaaaaaaab, v72
	v_cmp_gt_u32_e64 s1, 0x50, v149
	v_mul_f64_e32 v[112:113], s[12:13], v[77:78]
	v_mul_f64_e32 v[126:127], s[22:23], v[77:78]
	s_delay_alu instid0(VALU_DEP_4) | instskip(NEXT) | instid1(VALU_DEP_1)
	v_lshrrev_b32_e32 v95, 1, v95
	v_lshl_add_u32 v95, v95, 1, v95
	s_delay_alu instid0(VALU_DEP_1) | instskip(SKIP_2) | instid1(VALU_DEP_3)
	v_sub_nc_u32_e32 v72, v72, v95
	v_fma_f64 v[81:82], v[75:76], s[16:17], -v[83:84]
	v_fma_f64 v[87:88], v[75:76], s[18:19], -v[102:103]
	v_mul_u32_u24_e32 v72, 0x550, v72
	v_fma_f64 v[93:94], v[79:80], s[18:19], -v[89:90]
	v_fma_f64 v[98:99], v[79:80], s[20:21], -v[110:111]
	s_delay_alu instid0(VALU_DEP_3)
	v_lshlrev_b32_e32 v150, 3, v72
	v_fma_f64 v[104:105], v[85:86], s[30:31], -v[108:109]
	v_fma_f64 v[114:115], v[85:86], s[34:35], -v[118:119]
	;; [unrolled: 1-line block ×3, first 2 shown]
	v_add_f64_e32 v[100:101], v[81:82], v[12:13]
	v_add_f64_e32 v[87:88], v[87:88], v[12:13]
	v_add_f64_e64 v[81:82], v[54:55], -v[22:23]
	s_delay_alu instid0(VALU_DEP_3) | instskip(NEXT) | instid1(VALU_DEP_3)
	v_add_f64_e32 v[93:94], v[93:94], v[100:101]
	v_add_f64_e32 v[98:99], v[98:99], v[87:88]
	v_add_f64_e64 v[87:88], v[66:67], -v[26:27]
	s_delay_alu instid0(VALU_DEP_4)
	v_mul_f64_e32 v[120:121], s[26:27], v[81:82]
	v_mul_f64_e32 v[132:133], s[24:25], v[81:82]
	v_fma_f64 v[100:101], v[91:92], s[20:21], -v[112:113]
	v_add_f64_e32 v[104:105], v[104:105], v[93:94]
	v_add_f64_e32 v[98:99], v[114:115], v[98:99]
	;; [unrolled: 1-line block ×3, first 2 shown]
	v_add_f64_e64 v[93:94], v[62:63], -v[38:39]
	v_mul_f64_e32 v[124:125], s[14:15], v[87:88]
	v_mul_f64_e32 v[134:135], s[36:37], v[87:88]
	v_fma_f64 v[122:123], v[106:107], s[48:49], -v[120:121]
	v_fma_f64 v[130:131], v[106:107], s[46:47], -v[132:133]
	v_add_f64_e32 v[100:101], v[100:101], v[104:105]
	v_add_f64_e32 v[98:99], v[116:117], v[98:99]
	;; [unrolled: 1-line block ×3, first 2 shown]
	v_add_f64_e64 v[104:105], v[58:59], -v[34:35]
	v_mul_f64_e32 v[128:129], s[44:45], v[93:94]
	v_mul_f64_e32 v[138:139], s[38:39], v[93:94]
	v_fma_f64 v[140:141], v[114:115], s[34:35], -v[124:125]
	v_fma_f64 v[142:143], v[114:115], s[48:49], -v[134:135]
	v_add_f64_e32 v[100:101], v[122:123], v[100:101]
	v_add_f64_e32 v[98:99], v[130:131], v[98:99]
	v_add_f64_e32 v[122:123], v[56:57], v[32:33]
	v_mul_f64_e32 v[130:131], s[22:23], v[104:105]
	v_mul_f64_e32 v[136:137], s[42:43], v[104:105]
	v_fma_f64 v[144:145], v[116:117], s[46:47], -v[128:129]
	v_fma_f64 v[146:147], v[116:117], s[30:31], -v[138:139]
	v_add_f64_e32 v[100:101], v[140:141], v[100:101]
	v_add_f64_e32 v[98:99], v[142:143], v[98:99]
	v_fma_f64 v[140:141], v[122:123], s[40:41], -v[130:131]
	v_fma_f64 v[142:143], v[122:123], s[16:17], -v[136:137]
	s_delay_alu instid0(VALU_DEP_4) | instskip(NEXT) | instid1(VALU_DEP_4)
	v_add_f64_e32 v[100:101], v[144:145], v[100:101]
	v_add_f64_e32 v[98:99], v[146:147], v[98:99]
	s_delay_alu instid0(VALU_DEP_2) | instskip(NEXT) | instid1(VALU_DEP_2)
	v_add_f64_e32 v[100:101], v[140:141], v[100:101]
	v_add_f64_e32 v[98:99], v[142:143], v[98:99]
	s_and_saveexec_b32 s0, s1
	s_cbranch_execz .LBB0_14
; %bb.13:
	v_mul_f64_e32 v[140:141], s[48:49], v[75:76]
	v_mul_f64_e32 v[159:160], s[30:31], v[79:80]
	v_mul_f64_e32 v[165:166], s[48:49], v[79:80]
	s_mov_b32 s55, 0x3fe58eea
	s_mov_b32 s54, s6
	;; [unrolled: 1-line block ×6, first 2 shown]
	v_mul_u32_u24_e32 v72, 0x88, v149
	s_mov_b32 s57, 0x3fc7851a
	s_mov_b32 s56, s22
	s_delay_alu instid0(VALU_DEP_1) | instskip(SKIP_3) | instid1(VALU_DEP_3)
	v_add3_u32 v95, 0, v72, v150
	v_fma_f64 v[142:143], v[68:69], s[26:27], v[140:141]
	v_fma_f64 v[161:162], v[70:71], s[38:39], v[159:160]
	;; [unrolled: 1-line block ×3, first 2 shown]
	v_add_f64_e32 v[144:145], v[142:143], v[12:13]
	v_mul_f64_e32 v[142:143], s[46:47], v[79:80]
	s_delay_alu instid0(VALU_DEP_1) | instskip(NEXT) | instid1(VALU_DEP_1)
	v_fma_f64 v[146:147], v[70:71], s[24:25], v[142:143]
	v_add_f64_e32 v[151:152], v[146:147], v[144:145]
	v_mul_f64_e32 v[144:145], s[20:21], v[75:76]
	s_delay_alu instid0(VALU_DEP_1) | instskip(NEXT) | instid1(VALU_DEP_1)
	v_fma_f64 v[146:147], v[68:69], s[12:13], v[144:145]
	;; [unrolled: 4-line block ×3, first 2 shown]
	v_add_f64_e32 v[153:154], v[155:156], v[153:154]
	v_mul_f64_e32 v[155:156], s[46:47], v[75:76]
	s_delay_alu instid0(VALU_DEP_1) | instskip(SKIP_1) | instid1(VALU_DEP_2)
	v_fma_f64 v[157:158], v[68:69], s[44:45], v[155:156]
	v_fma_f64 v[155:156], v[68:69], s[24:25], v[155:156]
	v_add_f64_e32 v[157:158], v[157:158], v[12:13]
	s_delay_alu instid0(VALU_DEP_2) | instskip(NEXT) | instid1(VALU_DEP_2)
	v_add_f64_e32 v[155:156], v[155:156], v[12:13]
	v_add_f64_e32 v[157:158], v[161:162], v[157:158]
	v_mul_f64_e32 v[161:162], s[34:35], v[75:76]
	s_delay_alu instid0(VALU_DEP_1) | instskip(NEXT) | instid1(VALU_DEP_1)
	v_fma_f64 v[163:164], v[68:69], s[14:15], v[161:162]
	v_add_f64_e32 v[163:164], v[163:164], v[12:13]
	s_delay_alu instid0(VALU_DEP_1) | instskip(SKIP_1) | instid1(VALU_DEP_1)
	v_add_f64_e32 v[163:164], v[167:168], v[163:164]
	v_mul_f64_e32 v[167:168], s[18:19], v[85:86]
	v_fma_f64 v[169:170], v[73:74], s[54:55], v[167:168]
	s_delay_alu instid0(VALU_DEP_1) | instskip(SKIP_1) | instid1(VALU_DEP_1)
	v_add_f64_e32 v[151:152], v[169:170], v[151:152]
	v_mul_f64_e32 v[169:170], s[48:49], v[85:86]
	v_fma_f64 v[171:172], v[73:74], s[36:37], v[169:170]
	;; [unrolled: 4-line block ×24, first 2 shown]
	s_delay_alu instid0(VALU_DEP_1) | instskip(SKIP_4) | instid1(VALU_DEP_2)
	v_add_f64_e32 v[163:164], v[215:216], v[163:164]
	ds_store_2addr_b64 v95, v[153:154], v[151:152] offset0:4 offset1:5
	ds_store_2addr_b64 v95, v[163:164], v[157:158] offset0:6 offset1:7
	v_mul_f64_e32 v[151:152], s[40:41], v[75:76]
	v_mul_f64_e32 v[157:158], s[16:17], v[79:80]
	v_fma_f64 v[153:154], v[68:69], s[56:57], v[151:152]
	v_fma_f64 v[151:152], v[68:69], s[22:23], v[151:152]
	s_delay_alu instid0(VALU_DEP_3) | instskip(SKIP_1) | instid1(VALU_DEP_4)
	v_fma_f64 v[163:164], v[70:71], s[2:3], v[157:158]
	v_fma_f64 v[157:158], v[70:71], s[42:43], v[157:158]
	v_add_f64_e32 v[153:154], v[153:154], v[12:13]
	s_delay_alu instid0(VALU_DEP_4) | instskip(NEXT) | instid1(VALU_DEP_2)
	v_add_f64_e32 v[151:152], v[151:152], v[12:13]
	v_add_f64_e32 v[153:154], v[163:164], v[153:154]
	s_delay_alu instid0(VALU_DEP_2) | instskip(SKIP_2) | instid1(VALU_DEP_2)
	v_add_f64_e32 v[151:152], v[157:158], v[151:152]
	v_fma_f64 v[157:158], v[70:71], s[28:29], v[159:160]
	v_fma_f64 v[159:160], v[70:71], s[26:27], v[165:166]
	v_add_f64_e32 v[155:156], v[157:158], v[155:156]
	v_fma_f64 v[157:158], v[68:69], s[50:51], v[161:162]
	s_delay_alu instid0(VALU_DEP_1) | instskip(NEXT) | instid1(VALU_DEP_1)
	v_add_f64_e32 v[157:158], v[157:158], v[12:13]
	v_add_f64_e32 v[157:158], v[159:160], v[157:158]
	v_mul_f64_e32 v[159:160], s[46:47], v[85:86]
	s_delay_alu instid0(VALU_DEP_1) | instskip(SKIP_1) | instid1(VALU_DEP_2)
	v_fma_f64 v[161:162], v[73:74], s[24:25], v[159:160]
	v_fma_f64 v[159:160], v[73:74], s[44:45], v[159:160]
	v_add_f64_e32 v[153:154], v[161:162], v[153:154]
	s_delay_alu instid0(VALU_DEP_2) | instskip(SKIP_1) | instid1(VALU_DEP_1)
	v_add_f64_e32 v[151:152], v[159:160], v[151:152]
	v_fma_f64 v[159:160], v[73:74], s[52:53], v[171:172]
	v_add_f64_e32 v[155:156], v[159:160], v[155:156]
	v_fma_f64 v[159:160], v[73:74], s[42:43], v[173:174]
	s_delay_alu instid0(VALU_DEP_1) | instskip(SKIP_1) | instid1(VALU_DEP_1)
	v_add_f64_e32 v[157:158], v[159:160], v[157:158]
	v_mul_f64_e32 v[159:160], s[18:19], v[91:92]
	v_fma_f64 v[161:162], v[77:78], s[6:7], v[159:160]
	v_fma_f64 v[159:160], v[77:78], s[54:55], v[159:160]
	s_delay_alu instid0(VALU_DEP_2) | instskip(NEXT) | instid1(VALU_DEP_2)
	v_add_f64_e32 v[153:154], v[161:162], v[153:154]
	v_add_f64_e32 v[151:152], v[159:160], v[151:152]
	v_fma_f64 v[159:160], v[77:78], s[14:15], v[179:180]
	s_delay_alu instid0(VALU_DEP_1) | instskip(SKIP_1) | instid1(VALU_DEP_1)
	v_add_f64_e32 v[155:156], v[159:160], v[155:156]
	v_fma_f64 v[159:160], v[77:78], s[24:25], v[181:182]
	v_add_f64_e32 v[157:158], v[159:160], v[157:158]
	v_mul_f64_e32 v[159:160], s[34:35], v[106:107]
	s_delay_alu instid0(VALU_DEP_1) | instskip(SKIP_1) | instid1(VALU_DEP_2)
	v_fma_f64 v[161:162], v[81:82], s[50:51], v[159:160]
	v_fma_f64 v[159:160], v[81:82], s[14:15], v[159:160]
	v_add_f64_e32 v[153:154], v[161:162], v[153:154]
	s_delay_alu instid0(VALU_DEP_2) | instskip(SKIP_1) | instid1(VALU_DEP_1)
	v_add_f64_e32 v[151:152], v[159:160], v[151:152]
	v_fma_f64 v[159:160], v[81:82], s[42:43], v[187:188]
	v_add_f64_e32 v[155:156], v[159:160], v[155:156]
	v_fma_f64 v[159:160], v[81:82], s[12:13], v[189:190]
	s_delay_alu instid0(VALU_DEP_1) | instskip(SKIP_1) | instid1(VALU_DEP_1)
	v_add_f64_e32 v[157:158], v[159:160], v[157:158]
	v_mul_f64_e32 v[159:160], s[30:31], v[114:115]
	v_fma_f64 v[161:162], v[87:88], s[28:29], v[159:160]
	v_fma_f64 v[159:160], v[87:88], s[38:39], v[159:160]
	s_delay_alu instid0(VALU_DEP_2) | instskip(NEXT) | instid1(VALU_DEP_2)
	v_add_f64_e32 v[153:154], v[161:162], v[153:154]
	v_add_f64_e32 v[151:152], v[159:160], v[151:152]
	v_fma_f64 v[159:160], v[87:88], s[56:57], v[195:196]
	s_delay_alu instid0(VALU_DEP_1) | instskip(SKIP_1) | instid1(VALU_DEP_1)
	v_add_f64_e32 v[155:156], v[159:160], v[155:156]
	v_fma_f64 v[159:160], v[87:88], s[54:55], v[197:198]
	;; [unrolled: 23-line block ×3, first 2 shown]
	v_add_f64_e32 v[157:158], v[159:160], v[157:158]
	ds_store_2addr_b64 v95, v[151:152], v[153:154] offset0:8 offset1:9
	ds_store_2addr_b64 v95, v[155:156], v[157:158] offset0:10 offset1:11
	v_mul_f64_e32 v[151:152], s[30:31], v[116:117]
	s_delay_alu instid0(VALU_DEP_1) | instskip(SKIP_1) | instid1(VALU_DEP_1)
	v_add_f64_e32 v[138:139], v[138:139], v[151:152]
	v_mul_f64_e32 v[151:152], s[34:35], v[85:86]
	v_add_f64_e32 v[118:119], v[118:119], v[151:152]
	v_mul_f64_e32 v[151:152], s[18:19], v[75:76]
	s_delay_alu instid0(VALU_DEP_1) | instskip(SKIP_1) | instid1(VALU_DEP_2)
	v_add_f64_e32 v[102:103], v[102:103], v[151:152]
	v_mul_f64_e32 v[151:152], s[20:21], v[79:80]
	v_add_f64_e32 v[102:103], v[102:103], v[12:13]
	s_delay_alu instid0(VALU_DEP_2) | instskip(SKIP_1) | instid1(VALU_DEP_2)
	v_add_f64_e32 v[110:111], v[110:111], v[151:152]
	v_mul_f64_e32 v[151:152], s[40:41], v[91:92]
	v_add_f64_e32 v[102:103], v[110:111], v[102:103]
	s_delay_alu instid0(VALU_DEP_2) | instskip(SKIP_1) | instid1(VALU_DEP_3)
	v_add_f64_e32 v[126:127], v[126:127], v[151:152]
	v_mul_f64_e32 v[151:152], s[46:47], v[106:107]
	v_add_f64_e32 v[102:103], v[118:119], v[102:103]
	s_delay_alu instid0(VALU_DEP_2) | instskip(SKIP_1) | instid1(VALU_DEP_3)
	;; [unrolled: 4-line block ×3, first 2 shown]
	v_add_f64_e32 v[134:135], v[134:135], v[151:152]
	v_mul_f64_e32 v[151:152], s[16:17], v[122:123]
	v_add_f64_e32 v[102:103], v[132:133], v[102:103]
	s_delay_alu instid0(VALU_DEP_2) | instskip(SKIP_2) | instid1(VALU_DEP_4)
	v_add_f64_e32 v[136:137], v[136:137], v[151:152]
	v_mul_f64_e32 v[151:152], s[30:31], v[85:86]
	v_mul_f64_e32 v[85:86], s[40:41], v[85:86]
	v_add_f64_e32 v[102:103], v[134:135], v[102:103]
	s_delay_alu instid0(VALU_DEP_3) | instskip(SKIP_2) | instid1(VALU_DEP_4)
	v_add_f64_e32 v[108:109], v[108:109], v[151:152]
	v_mul_f64_e32 v[151:152], s[16:17], v[75:76]
	v_mul_f64_e32 v[75:76], s[30:31], v[75:76]
	v_add_f64_e32 v[102:103], v[138:139], v[102:103]
	s_delay_alu instid0(VALU_DEP_3) | instskip(SKIP_2) | instid1(VALU_DEP_4)
	v_add_f64_e32 v[83:84], v[83:84], v[151:152]
	v_mul_f64_e32 v[151:152], s[18:19], v[79:80]
	v_mul_f64_e32 v[79:80], s[34:35], v[79:80]
	v_add_f64_e32 v[102:103], v[136:137], v[102:103]
	s_delay_alu instid0(VALU_DEP_4) | instskip(NEXT) | instid1(VALU_DEP_4)
	v_add_f64_e32 v[83:84], v[83:84], v[12:13]
	v_add_f64_e32 v[89:90], v[89:90], v[151:152]
	v_mul_f64_e32 v[151:152], s[20:21], v[91:92]
	v_fma_f64 v[153:154], v[70:71], s[14:15], v[79:80]
	v_mul_f64_e32 v[91:92], s[48:49], v[91:92]
	s_delay_alu instid0(VALU_DEP_4) | instskip(NEXT) | instid1(VALU_DEP_4)
	v_add_f64_e32 v[83:84], v[89:90], v[83:84]
	v_add_f64_e32 v[112:113], v[112:113], v[151:152]
	v_mul_f64_e32 v[151:152], s[48:49], v[106:107]
	v_fma_f64 v[89:90], v[73:74], s[56:57], v[85:86]
	v_mul_f64_e32 v[106:107], s[18:19], v[106:107]
	v_add_f64_e32 v[83:84], v[108:109], v[83:84]
	v_fma_f64 v[108:109], v[77:78], s[36:37], v[91:92]
	v_add_f64_e32 v[120:121], v[120:121], v[151:152]
	v_mul_f64_e32 v[151:152], s[34:35], v[114:115]
	s_delay_alu instid0(VALU_DEP_4) | instskip(NEXT) | instid1(VALU_DEP_2)
	v_add_f64_e32 v[83:84], v[112:113], v[83:84]
	v_add_f64_e32 v[124:125], v[124:125], v[151:152]
	v_mul_f64_e32 v[151:152], s[46:47], v[116:117]
	s_delay_alu instid0(VALU_DEP_3) | instskip(NEXT) | instid1(VALU_DEP_2)
	v_add_f64_e32 v[83:84], v[120:121], v[83:84]
	v_add_f64_e32 v[128:129], v[128:129], v[151:152]
	v_mul_f64_e32 v[151:152], s[40:41], v[122:123]
	s_delay_alu instid0(VALU_DEP_3) | instskip(NEXT) | instid1(VALU_DEP_2)
	v_add_f64_e32 v[83:84], v[124:125], v[83:84]
	v_add_f64_e32 v[130:131], v[130:131], v[151:152]
	v_fma_f64 v[151:152], v[68:69], s[28:29], v[75:76]
	s_delay_alu instid0(VALU_DEP_3) | instskip(NEXT) | instid1(VALU_DEP_2)
	v_add_f64_e32 v[83:84], v[128:129], v[83:84]
	v_add_f64_e32 v[151:152], v[151:152], v[12:13]
	s_delay_alu instid0(VALU_DEP_2) | instskip(NEXT) | instid1(VALU_DEP_2)
	v_add_f64_e32 v[83:84], v[130:131], v[83:84]
	v_add_f64_e32 v[151:152], v[153:154], v[151:152]
	s_delay_alu instid0(VALU_DEP_1) | instskip(NEXT) | instid1(VALU_DEP_1)
	v_add_f64_e32 v[89:90], v[89:90], v[151:152]
	v_add_f64_e32 v[89:90], v[108:109], v[89:90]
	v_fma_f64 v[108:109], v[81:82], s[54:55], v[106:107]
	s_delay_alu instid0(VALU_DEP_1) | instskip(SKIP_1) | instid1(VALU_DEP_1)
	v_add_f64_e32 v[89:90], v[108:109], v[89:90]
	v_mul_f64_e32 v[108:109], s[16:17], v[114:115]
	v_fma_f64 v[110:111], v[87:88], s[2:3], v[108:109]
	s_delay_alu instid0(VALU_DEP_1) | instskip(SKIP_1) | instid1(VALU_DEP_1)
	v_add_f64_e32 v[89:90], v[110:111], v[89:90]
	v_mul_f64_e32 v[110:111], s[20:21], v[116:117]
	;; [unrolled: 4-line block ×3, first 2 shown]
	v_fma_f64 v[114:115], v[104:105], s[44:45], v[112:113]
	s_delay_alu instid0(VALU_DEP_1) | instskip(SKIP_1) | instid1(VALU_DEP_1)
	v_add_f64_e32 v[89:90], v[114:115], v[89:90]
	v_add_f64_e32 v[114:115], v[28:29], v[12:13]
	;; [unrolled: 1-line block ×3, first 2 shown]
	s_delay_alu instid0(VALU_DEP_1) | instskip(NEXT) | instid1(VALU_DEP_1)
	v_add_f64_e32 v[114:115], v[44:45], v[114:115]
	v_add_f64_e32 v[114:115], v[48:49], v[114:115]
	s_delay_alu instid0(VALU_DEP_1) | instskip(NEXT) | instid1(VALU_DEP_1)
	v_add_f64_e32 v[114:115], v[52:53], v[114:115]
	v_add_f64_e32 v[114:115], v[64:65], v[114:115]
	;; [unrolled: 3-line block ×7, first 2 shown]
	ds_store_2addr_b64 v95, v[102:103], v[89:90] offset0:2 offset1:3
	ds_store_2addr_b64 v95, v[114:115], v[83:84] offset1:1
	v_fma_f64 v[83:84], v[68:69], s[36:37], v[140:141]
	v_fma_f64 v[89:90], v[68:69], s[52:53], v[144:145]
	v_fma_f64 v[68:69], v[68:69], s[38:39], v[75:76]
	v_fma_f64 v[75:76], v[70:71], s[44:45], v[142:143]
	v_fma_f64 v[102:103], v[70:71], s[56:57], v[146:147]
	v_fma_f64 v[70:71], v[70:71], s[50:51], v[79:80]
	v_fma_f64 v[79:80], v[73:74], s[6:7], v[167:168]
	v_fma_f64 v[114:115], v[73:74], s[26:27], v[169:170]
	v_fma_f64 v[72:73], v[73:74], s[22:23], v[85:86]
	v_add_f64_e32 v[83:84], v[83:84], v[12:13]
	s_delay_alu instid0(VALU_DEP_1) | instskip(SKIP_3) | instid1(VALU_DEP_4)
	v_add_f64_e32 v[74:75], v[75:76], v[83:84]
	v_add_f64_e32 v[83:84], v[89:90], v[12:13]
	;; [unrolled: 1-line block ×3, first 2 shown]
	v_fma_f64 v[68:69], v[77:78], s[38:39], v[175:176]
	v_add_f64_e32 v[74:75], v[79:80], v[74:75]
	s_delay_alu instid0(VALU_DEP_4) | instskip(NEXT) | instid1(VALU_DEP_4)
	v_add_f64_e32 v[83:84], v[102:103], v[83:84]
	v_add_f64_e32 v[12:13], v[70:71], v[12:13]
	v_fma_f64 v[70:71], v[77:78], s[2:3], v[177:178]
	v_fma_f64 v[76:77], v[77:78], s[26:27], v[91:92]
	v_add_f64_e32 v[68:69], v[68:69], v[74:75]
	v_add_f64_e32 v[78:79], v[114:115], v[83:84]
	;; [unrolled: 1-line block ×3, first 2 shown]
	v_fma_f64 v[72:73], v[81:82], s[56:57], v[183:184]
	v_fma_f64 v[83:84], v[81:82], s[38:39], v[185:186]
	;; [unrolled: 1-line block ×4, first 2 shown]
	v_add_f64_e32 v[70:71], v[70:71], v[78:79]
	v_add_f64_e32 v[12:13], v[76:77], v[12:13]
	v_fma_f64 v[76:77], v[87:88], s[24:25], v[193:194]
	v_add_f64_e32 v[68:69], v[72:73], v[68:69]
	v_fma_f64 v[78:79], v[87:88], s[42:43], v[108:109]
	v_fma_f64 v[72:73], v[93:94], s[42:43], v[199:200]
	v_add_f64_e32 v[70:71], v[83:84], v[70:71]
	v_add_f64_e32 v[12:13], v[80:81], v[12:13]
	v_fma_f64 v[80:81], v[93:94], s[14:15], v[201:202]
	v_add_f64_e32 v[68:69], v[74:75], v[68:69]
	v_fma_f64 v[82:83], v[93:94], s[52:53], v[110:111]
	v_fma_f64 v[74:75], v[104:105], s[50:51], v[207:208]
	v_add_f64_e32 v[70:71], v[76:77], v[70:71]
	v_add_f64_e32 v[12:13], v[78:79], v[12:13]
	v_fma_f64 v[76:77], v[104:105], s[6:7], v[209:210]
	v_add_f64_e32 v[68:69], v[72:73], v[68:69]
	v_fma_f64 v[78:79], v[104:105], s[24:25], v[112:113]
	v_add_f64_e32 v[70:71], v[80:81], v[70:71]
	v_add_f64_e32 v[12:13], v[82:83], v[12:13]
	s_delay_alu instid0(VALU_DEP_4) | instskip(NEXT) | instid1(VALU_DEP_3)
	v_add_f64_e32 v[68:69], v[74:75], v[68:69]
	v_add_f64_e32 v[70:71], v[76:77], v[70:71]
	s_delay_alu instid0(VALU_DEP_3)
	v_add_f64_e32 v[12:13], v[78:79], v[12:13]
	ds_store_2addr_b64 v95, v[68:69], v[70:71] offset0:12 offset1:13
	ds_store_2addr_b64 v95, v[12:13], v[98:99] offset0:14 offset1:15
	ds_store_b64 v95, v[100:101] offset:128
.LBB0_14:
	s_wait_alu 0xfffe
	s_or_b32 exec_lo, exec_lo, s0
	v_lshlrev_b32_e32 v12, 3, v149
	global_wb scope:SCOPE_SE
	s_wait_dscnt 0x0
	s_barrier_signal -1
	s_barrier_wait -1
	global_inv scope:SCOPE_SE
	v_add_nc_u32_e32 v153, 0, v12
	v_add3_u32 v151, 0, v150, v12
	v_cmp_gt_u32_e64 s0, 17, v149
                                        ; implicit-def: $vgpr102_vgpr103
                                        ; implicit-def: $vgpr104_vgpr105
                                        ; implicit-def: $vgpr106_vgpr107
	s_delay_alu instid0(VALU_DEP_3)
	v_add_nc_u32_e32 v152, v153, v150
	ds_load_b64 v[108:109], v151
	v_add_nc_u32_e32 v12, 0x800, v152
	v_add_nc_u32_e32 v13, 0xc00, v152
	;; [unrolled: 1-line block ×6, first 2 shown]
	ds_load_2addr_b64 v[68:71], v152 offset0:85 offset1:170
	ds_load_2addr_b64 v[88:91], v12 offset0:16 offset1:101
	ds_load_2addr_b64 v[72:75], v13 offset0:58 offset1:160
	ds_load_2addr_b64 v[92:95], v76 offset0:48 offset1:133
	ds_load_2addr_b64 v[76:79], v77 offset0:90 offset1:192
	ds_load_2addr_b64 v[84:87], v80 offset0:117 offset1:202
	ds_load_2addr_b64 v[80:83], v81 offset0:149 offset1:234
	s_and_saveexec_b32 s2, s0
	s_cbranch_execz .LBB0_16
; %bb.15:
	ds_load_b64 v[98:99], v152 offset:2040
	ds_load_b64 v[100:101], v152 offset:4216
	;; [unrolled: 1-line block ×5, first 2 shown]
.LBB0_16:
	s_wait_alu 0xfffe
	s_or_b32 exec_lo, exec_lo, s2
	v_add_f64_e64 v[146:147], v[28:29], -v[0:1]
	s_mov_b32 s20, 0x5d8e7cdc
	s_mov_b32 s34, 0x2a9d6da3
	s_mov_b32 s21, 0xbfd71e95
	s_mov_b32 s35, 0xbfe58eea
	v_add_f64_e32 v[132:133], v[30:31], v[2:3]
	v_add_f64_e64 v[144:145], v[40:41], -v[4:5]
	s_mov_b32 s12, 0x370991
	s_mov_b32 s2, 0x75d4884
	s_mov_b32 s30, 0xeb564b22
	s_mov_b32 s13, 0x3fedd6d0
	s_mov_b32 s3, 0x3fe7a5f6
	s_mov_b32 s31, 0xbfefdd0d
	v_add_f64_e32 v[130:131], v[42:43], v[6:7]
	v_add_f64_e64 v[134:135], v[44:45], -v[8:9]
	s_mov_b32 s6, 0x3259b75e
	s_mov_b32 s42, 0x7c9e640b
	;; [unrolled: 8-line block ×4, first 2 shown]
	s_mov_b32 s44, 0x4363dd80
	s_mov_b32 s23, 0xbfef7484
	;; [unrolled: 1-line block ×4, first 2 shown]
	v_add_f64_e32 v[52:53], v[54:55], v[22:23]
	s_wait_alu 0xfffe
	v_mul_f64_e32 v[140:141], s[20:21], v[146:147]
	v_mul_f64_e32 v[142:143], s[34:35], v[146:147]
	v_add_f64_e64 v[114:115], v[64:65], -v[24:25]
	s_mov_b32 s24, 0xc61f0d01
	s_mov_b32 s26, 0x910ea3b9
	;; [unrolled: 1-line block ×3, first 2 shown]
	v_mul_f64_e32 v[136:137], s[34:35], v[144:145]
	v_mul_f64_e32 v[138:139], s[30:31], v[144:145]
	s_mov_b32 s27, 0xbfeb34fa
	s_mov_b32 s47, 0x3feec746
	;; [unrolled: 1-line block ×3, first 2 shown]
	v_add_f64_e32 v[40:41], v[26:27], v[66:67]
	v_add_f64_e64 v[36:37], v[60:61], -v[36:37]
	s_mov_b32 s41, 0xbfe0d888
	v_mul_f64_e32 v[124:125], s[42:43], v[134:135]
	v_mul_f64_e32 v[126:127], s[18:19], v[134:135]
	s_mov_b32 s40, s44
	s_mov_b32 s38, s42
	;; [unrolled: 1-line block ×4, first 2 shown]
	global_wb scope:SCOPE_SE
	s_wait_dscnt 0x0
	s_barrier_signal -1
	v_mul_f64_e32 v[118:119], s[30:31], v[128:129]
	v_mul_f64_e32 v[120:121], s[36:37], v[128:129]
	s_barrier_wait -1
	global_inv scope:SCOPE_SE
	v_mul_f64_e32 v[64:65], s[28:29], v[122:123]
	v_mul_f64_e32 v[112:113], s[44:45], v[122:123]
	v_fma_f64 v[0:1], v[132:133], s[12:13], v[140:141]
	v_fma_f64 v[4:5], v[132:133], s[2:3], v[142:143]
	v_mul_f64_e32 v[44:45], s[18:19], v[114:115]
	s_wait_alu 0xfffe
	v_mul_f64_e32 v[48:49], s[46:47], v[114:115]
	v_fma_f64 v[8:9], v[130:131], s[2:3], v[136:137]
	v_fma_f64 v[12:13], v[130:131], s[6:7], v[138:139]
	v_mul_f64_e32 v[24:25], s[38:39], v[36:37]
	v_fma_f64 v[16:17], v[116:117], s[14:15], v[124:125]
	v_fma_f64 v[20:21], v[116:117], s[16:17], v[126:127]
	;; [unrolled: 1-line block ×4, first 2 shown]
	v_add_f64_e32 v[0:1], v[0:1], v[14:15]
	v_add_f64_e32 v[4:5], v[4:5], v[14:15]
	s_delay_alu instid0(VALU_DEP_2) | instskip(NEXT) | instid1(VALU_DEP_2)
	v_add_f64_e32 v[0:1], v[8:9], v[0:1]
	v_add_f64_e32 v[4:5], v[12:13], v[4:5]
	v_fma_f64 v[8:9], v[110:111], s[6:7], v[118:119]
	v_fma_f64 v[12:13], v[110:111], s[22:23], v[120:121]
	s_delay_alu instid0(VALU_DEP_4) | instskip(NEXT) | instid1(VALU_DEP_4)
	v_add_f64_e32 v[0:1], v[16:17], v[0:1]
	v_add_f64_e32 v[4:5], v[20:21], v[4:5]
	v_add_f64_e64 v[16:17], v[56:57], -v[32:33]
	v_mul_f64_e32 v[20:21], s[40:41], v[36:37]
	v_fma_f64 v[32:33], v[40:41], s[16:17], v[44:45]
	v_fma_f64 v[56:57], v[40:41], s[24:25], v[48:49]
	v_add_f64_e32 v[0:1], v[8:9], v[0:1]
	v_add_f64_e32 v[8:9], v[12:13], v[4:5]
	;; [unrolled: 1-line block ×3, first 2 shown]
	v_mul_f64_e32 v[12:13], s[48:49], v[16:17]
	s_delay_alu instid0(VALU_DEP_4) | instskip(NEXT) | instid1(VALU_DEP_4)
	v_add_f64_e32 v[28:29], v[28:29], v[0:1]
	v_add_f64_e32 v[60:61], v[60:61], v[8:9]
	v_add_f64_e32 v[0:1], v[58:59], v[34:35]
	v_mul_f64_e32 v[8:9], s[36:37], v[16:17]
	v_fma_f64 v[154:155], v[4:5], s[26:27], v[20:21]
	v_fma_f64 v[156:157], v[4:5], s[14:15], v[24:25]
	v_add_f64_e32 v[28:29], v[32:33], v[28:29]
	v_add_f64_e32 v[32:33], v[56:57], v[60:61]
	v_fma_f64 v[60:61], v[0:1], s[12:13], v[12:13]
	v_fma_f64 v[56:57], v[0:1], s[22:23], v[8:9]
	s_delay_alu instid0(VALU_DEP_4) | instskip(NEXT) | instid1(VALU_DEP_4)
	v_add_f64_e32 v[28:29], v[154:155], v[28:29]
	v_add_f64_e32 v[154:155], v[156:157], v[32:33]
	s_delay_alu instid0(VALU_DEP_2) | instskip(NEXT) | instid1(VALU_DEP_2)
	v_add_f64_e32 v[32:33], v[56:57], v[28:29]
	v_add_f64_e32 v[28:29], v[60:61], v[154:155]
	s_and_saveexec_b32 s33, s1
	s_cbranch_execz .LBB0_18
; %bb.17:
	v_add_f64_e32 v[30:31], v[30:31], v[14:15]
	v_mul_f64_e32 v[56:57], s[18:19], v[146:147]
	v_mul_f64_e32 v[60:61], s[40:41], v[146:147]
	;; [unrolled: 1-line block ×9, first 2 shown]
	s_mov_b32 s51, 0x3fc7851a
	s_mov_b32 s50, s36
	;; [unrolled: 1-line block ×4, first 2 shown]
	v_mul_f64_e32 v[160:161], s[14:15], v[116:117]
	v_mul_f64_e32 v[164:165], s[16:17], v[116:117]
	;; [unrolled: 1-line block ×4, first 2 shown]
	s_wait_alu 0xfffe
	v_mul_f64_e32 v[186:187], s[50:51], v[134:135]
	v_mul_f64_e32 v[168:169], s[6:7], v[110:111]
	;; [unrolled: 1-line block ×5, first 2 shown]
	v_add_f64_e32 v[30:31], v[42:43], v[30:31]
	v_mul_f64_e32 v[42:43], s[12:13], v[132:133]
	v_fma_f64 v[174:175], v[132:133], s[16:17], -v[56:57]
	v_fma_f64 v[56:57], v[132:133], s[16:17], v[56:57]
	v_fma_f64 v[176:177], v[132:133], s[26:27], -v[60:61]
	v_fma_f64 v[60:61], v[132:133], s[26:27], v[60:61]
	v_fma_f64 v[188:189], v[130:131], s[26:27], -v[162:163]
	v_fma_f64 v[162:163], v[130:131], s[26:27], v[162:163]
	v_fma_f64 v[190:191], v[130:131], s[24:25], -v[166:167]
	v_fma_f64 v[166:167], v[130:131], s[24:25], v[166:167]
	v_fma_f64 v[192:193], v[130:131], s[14:15], -v[170:171]
	v_fma_f64 v[170:171], v[130:131], s[14:15], v[170:171]
	v_fma_f64 v[194:195], v[130:131], s[12:13], -v[144:145]
	v_add_f64_e64 v[124:125], v[160:161], -v[124:125]
	v_add_f64_e64 v[126:127], v[164:165], -v[126:127]
	v_fma_f64 v[202:203], v[116:117], s[6:7], -v[182:183]
	v_fma_f64 v[182:183], v[116:117], s[6:7], v[182:183]
	v_fma_f64 v[204:205], v[116:117], s[26:27], -v[184:185]
	v_fma_f64 v[184:185], v[116:117], s[26:27], v[184:185]
	;; [unrolled: 2-line block ×3, first 2 shown]
	v_add_f64_e64 v[118:119], v[168:169], -v[118:119]
	v_add_f64_e64 v[120:121], v[172:173], -v[120:121]
	v_fma_f64 v[172:173], v[110:111], s[14:15], v[196:197]
	v_add_f64_e32 v[30:31], v[46:47], v[30:31]
	v_mul_f64_e32 v[46:47], s[2:3], v[132:133]
	v_add_f64_e64 v[42:43], v[42:43], -v[140:141]
	v_add_f64_e32 v[56:57], v[56:57], v[14:15]
	v_add_f64_e32 v[60:61], v[60:61], v[14:15]
	;; [unrolled: 1-line block ×3, first 2 shown]
	v_mul_f64_e32 v[50:51], s[30:31], v[146:147]
	v_add_f64_e64 v[46:47], v[46:47], -v[142:143]
	v_add_f64_e32 v[42:43], v[42:43], v[14:15]
	v_add_f64_e32 v[56:57], v[166:167], v[56:57]
	;; [unrolled: 1-line block ×3, first 2 shown]
	v_fma_f64 v[170:171], v[110:111], s[14:15], -v[196:197]
	v_add_f64_e32 v[30:31], v[54:55], v[30:31]
	v_mul_f64_e32 v[54:55], s[28:29], v[146:147]
	v_fma_f64 v[140:141], v[132:133], s[6:7], -v[50:51]
	v_fma_f64 v[50:51], v[132:133], s[6:7], v[50:51]
	v_add_f64_e32 v[46:47], v[46:47], v[14:15]
	v_add_f64_e32 v[60:61], v[182:183], v[60:61]
	;; [unrolled: 1-line block ×3, first 2 shown]
	v_mul_f64_e32 v[66:67], s[36:37], v[146:147]
	v_mul_f64_e32 v[146:147], s[42:43], v[146:147]
	v_fma_f64 v[142:143], v[132:133], s[24:25], -v[54:55]
	v_fma_f64 v[54:55], v[132:133], s[24:25], v[54:55]
	v_add_f64_e32 v[140:141], v[140:141], v[14:15]
	v_add_f64_e32 v[50:51], v[50:51], v[14:15]
	v_add_f64_e32 v[30:31], v[62:63], v[30:31]
	v_mul_f64_e32 v[62:63], s[2:3], v[130:131]
	v_fma_f64 v[178:179], v[132:133], s[22:23], -v[66:67]
	v_fma_f64 v[66:67], v[132:133], s[22:23], v[66:67]
	v_fma_f64 v[180:181], v[132:133], s[14:15], v[146:147]
	v_add_f64_e32 v[142:143], v[142:143], v[14:15]
	v_add_f64_e32 v[54:55], v[54:55], v[14:15]
	v_add_f64_e32 v[30:31], v[58:59], v[30:31]
	v_fma_f64 v[58:59], v[132:133], s[14:15], -v[146:147]
	v_mul_f64_e32 v[132:133], s[46:47], v[134:135]
	v_mul_f64_e32 v[146:147], s[20:21], v[134:135]
	;; [unrolled: 1-line block ×3, first 2 shown]
	v_add_f64_e64 v[62:63], v[62:63], -v[136:137]
	v_add_f64_e64 v[136:137], v[154:155], -v[138:139]
	v_fma_f64 v[138:139], v[130:131], s[16:17], -v[156:157]
	v_fma_f64 v[154:155], v[130:131], s[16:17], v[156:157]
	v_fma_f64 v[156:157], v[130:131], s[22:23], -v[158:159]
	v_fma_f64 v[158:159], v[130:131], s[22:23], v[158:159]
	v_fma_f64 v[130:131], v[130:131], s[12:13], v[144:145]
	v_add_f64_e32 v[144:145], v[174:175], v[14:15]
	v_add_f64_e32 v[174:175], v[176:177], v[14:15]
	;; [unrolled: 1-line block ×5, first 2 shown]
	v_mul_f64_e32 v[180:181], s[48:49], v[128:129]
	v_add_f64_e32 v[54:55], v[162:163], v[54:55]
	v_add_f64_e32 v[30:31], v[34:35], v[30:31]
	;; [unrolled: 1-line block ×3, first 2 shown]
	v_mul_f64_e32 v[58:59], s[46:47], v[128:129]
	s_mov_b32 s47, 0x3fe9895b
	s_mov_b32 s46, s18
	v_fma_f64 v[160:161], v[116:117], s[24:25], -v[132:133]
	v_fma_f64 v[132:133], v[116:117], s[24:25], v[132:133]
	v_fma_f64 v[164:165], v[116:117], s[12:13], -v[146:147]
	v_fma_f64 v[146:147], v[116:117], s[12:13], v[146:147]
	;; [unrolled: 2-line block ×3, first 2 shown]
	v_add_f64_e32 v[42:43], v[62:63], v[42:43]
	v_add_f64_e32 v[46:47], v[136:137], v[46:47]
	;; [unrolled: 1-line block ×5, first 2 shown]
	s_wait_alu 0xfffe
	v_mul_f64_e32 v[200:201], s[46:47], v[128:129]
	v_mul_f64_e32 v[128:129], s[44:45], v[128:129]
	v_add_f64_e32 v[136:137], v[190:191], v[144:145]
	v_add_f64_e32 v[140:141], v[192:193], v[174:175]
	;; [unrolled: 1-line block ×5, first 2 shown]
	v_mul_f64_e32 v[34:35], s[24:25], v[52:53]
	v_mul_f64_e32 v[144:145], s[36:37], v[122:123]
	v_fma_f64 v[166:167], v[110:111], s[12:13], -v[180:181]
	v_fma_f64 v[168:169], v[110:111], s[12:13], v[180:181]
	v_mul_f64_e32 v[154:155], s[20:21], v[122:123]
	v_mul_f64_e32 v[156:157], s[18:19], v[122:123]
	;; [unrolled: 1-line block ×3, first 2 shown]
	v_fma_f64 v[174:175], v[110:111], s[26:27], -v[198:199]
	v_fma_f64 v[176:177], v[110:111], s[26:27], v[198:199]
	v_add_f64_e32 v[30:31], v[38:39], v[30:31]
	v_add_f64_e32 v[14:15], v[138:139], v[14:15]
	v_mul_f64_e32 v[138:139], s[42:43], v[122:123]
	s_mov_b32 s43, 0x3fefdd0d
	s_mov_b32 s42, s30
	v_mul_f64_e32 v[38:39], s[26:27], v[52:53]
	s_wait_alu 0xfffe
	v_mul_f64_e32 v[122:123], s[42:43], v[122:123]
	v_fma_f64 v[162:163], v[110:111], s[24:25], -v[58:59]
	v_fma_f64 v[58:59], v[110:111], s[24:25], v[58:59]
	v_add_f64_e32 v[56:57], v[146:147], v[56:57]
	v_add_f64_e32 v[54:55], v[116:117], v[54:55]
	;; [unrolled: 1-line block ×7, first 2 shown]
	v_fma_f64 v[178:179], v[110:111], s[16:17], -v[200:201]
	v_fma_f64 v[180:181], v[110:111], s[16:17], v[200:201]
	v_fma_f64 v[188:189], v[110:111], s[2:3], -v[128:129]
	v_fma_f64 v[110:111], v[110:111], s[2:3], v[128:129]
	v_add_f64_e32 v[126:127], v[164:165], v[136:137]
	v_add_f64_e32 v[128:129], v[202:203], v[140:141]
	;; [unrolled: 1-line block ×5, first 2 shown]
	v_mul_f64_e32 v[130:131], s[24:25], v[40:41]
	v_mul_f64_e32 v[134:135], s[20:21], v[114:115]
	;; [unrolled: 1-line block ×7, first 2 shown]
	v_add_f64_e64 v[34:35], v[34:35], -v[64:65]
	v_fma_f64 v[160:161], v[52:53], s[12:13], -v[154:155]
	v_fma_f64 v[154:155], v[52:53], s[12:13], v[154:155]
	v_fma_f64 v[164:165], v[52:53], s[16:17], -v[156:157]
	v_fma_f64 v[156:157], v[52:53], s[16:17], v[156:157]
	v_fma_f64 v[182:183], v[52:53], s[2:3], -v[158:159]
	v_add_f64_e32 v[26:27], v[26:27], v[30:31]
	v_add_f64_e32 v[14:15], v[206:207], v[14:15]
	v_mul_f64_e32 v[30:31], s[16:17], v[40:41]
	v_fma_f64 v[64:65], v[52:53], s[14:15], -v[138:139]
	v_fma_f64 v[158:159], v[52:53], s[2:3], v[158:159]
	v_add_f64_e64 v[38:39], v[38:39], -v[112:113]
	v_fma_f64 v[112:113], v[52:53], s[14:15], v[138:139]
	v_fma_f64 v[138:139], v[52:53], s[22:23], -v[144:145]
	v_fma_f64 v[144:145], v[52:53], s[22:23], v[144:145]
	v_fma_f64 v[184:185], v[52:53], s[6:7], -v[122:123]
	v_fma_f64 v[52:53], v[52:53], s[6:7], v[122:123]
	v_add_f64_e32 v[42:43], v[118:119], v[42:43]
	v_add_f64_e32 v[46:47], v[120:121], v[46:47]
	;; [unrolled: 1-line block ×13, first 2 shown]
	v_mul_f64_e32 v[110:111], s[14:15], v[4:5]
	v_mul_f64_e32 v[116:117], s[30:31], v[36:37]
	;; [unrolled: 1-line block ×5, first 2 shown]
	v_fma_f64 v[166:167], v[40:41], s[2:3], -v[140:141]
	v_fma_f64 v[172:173], v[40:41], s[6:7], -v[114:115]
	;; [unrolled: 1-line block ×3, first 2 shown]
	v_fma_f64 v[140:141], v[40:41], s[2:3], v[140:141]
	v_fma_f64 v[170:171], v[40:41], s[14:15], -v[146:147]
	v_fma_f64 v[146:147], v[40:41], s[14:15], v[146:147]
	v_fma_f64 v[142:143], v[40:41], s[22:23], v[142:143]
	v_add_f64_e32 v[22:23], v[22:23], v[26:27]
	v_add_f64_e32 v[14:15], v[162:163], v[14:15]
	v_mul_f64_e32 v[26:27], s[26:27], v[4:5]
	v_mul_f64_e32 v[162:163], s[46:47], v[36:37]
	;; [unrolled: 1-line block ×3, first 2 shown]
	v_add_f64_e64 v[30:31], v[30:31], -v[44:45]
	v_add_f64_e64 v[44:45], v[130:131], -v[48:49]
	v_fma_f64 v[48:49], v[40:41], s[12:13], -v[134:135]
	v_fma_f64 v[130:131], v[40:41], s[12:13], v[134:135]
	v_fma_f64 v[134:135], v[40:41], s[26:27], -v[136:137]
	v_fma_f64 v[136:137], v[40:41], s[26:27], v[136:137]
	v_add_f64_e32 v[34:35], v[34:35], v[42:43]
	v_add_f64_e32 v[38:39], v[38:39], v[46:47]
	;; [unrolled: 1-line block ×7, first 2 shown]
	v_fma_f64 v[40:41], v[40:41], s[6:7], v[114:115]
	v_add_f64_e32 v[54:55], v[144:145], v[54:55]
	v_add_f64_e32 v[62:63], v[184:185], v[120:121]
	;; [unrolled: 1-line block ×6, first 2 shown]
	v_mul_f64_e32 v[112:113], s[12:13], v[0:1]
	v_mul_f64_e32 v[114:115], s[40:41], v[16:17]
	;; [unrolled: 1-line block ×7, first 2 shown]
	v_add_f64_e64 v[24:25], v[110:111], -v[24:25]
	v_fma_f64 v[110:111], v[4:5], s[6:7], v[116:117]
	v_fma_f64 v[138:139], v[4:5], s[22:23], -v[128:129]
	v_fma_f64 v[128:129], v[4:5], s[22:23], v[128:129]
	v_fma_f64 v[144:145], v[4:5], s[24:25], -v[132:133]
	v_fma_f64 v[132:133], v[4:5], s[24:25], v[132:133]
	v_add_f64_e32 v[18:19], v[18:19], v[22:23]
	v_add_f64_e32 v[14:15], v[182:183], v[14:15]
	v_mul_f64_e32 v[22:23], s[22:23], v[0:1]
	v_add_f64_e64 v[20:21], v[26:27], -v[20:21]
	v_fma_f64 v[26:27], v[4:5], s[6:7], -v[116:117]
	v_fma_f64 v[116:117], v[4:5], s[12:13], -v[126:127]
	v_fma_f64 v[126:127], v[4:5], s[12:13], v[126:127]
	v_fma_f64 v[154:155], v[4:5], s[16:17], -v[162:163]
	v_fma_f64 v[156:157], v[4:5], s[16:17], v[162:163]
	;; [unrolled: 2-line block ×3, first 2 shown]
	v_add_f64_e32 v[30:31], v[30:31], v[34:35]
	v_add_f64_e32 v[34:35], v[44:45], v[38:39]
	;; [unrolled: 1-line block ×13, first 2 shown]
	v_add_f64_e64 v[12:13], v[112:113], -v[12:13]
	v_fma_f64 v[58:59], v[0:1], s[16:17], v[118:119]
	v_fma_f64 v[62:63], v[0:1], s[14:15], -v[120:121]
	v_fma_f64 v[64:65], v[0:1], s[14:15], v[120:121]
	v_fma_f64 v[66:67], v[0:1], s[24:25], -v[122:123]
	v_fma_f64 v[112:113], v[0:1], s[24:25], v[122:123]
	v_fma_f64 v[120:121], v[0:1], s[6:7], -v[16:17]
	v_add_f64_e32 v[10:11], v[10:11], v[18:19]
	v_add_f64_e32 v[14:15], v[48:49], v[14:15]
	v_add_f64_e64 v[8:9], v[22:23], -v[8:9]
	v_fma_f64 v[18:19], v[0:1], s[26:27], -v[114:115]
	v_fma_f64 v[22:23], v[0:1], s[26:27], v[114:115]
	v_fma_f64 v[48:49], v[0:1], s[16:17], -v[118:119]
	v_fma_f64 v[114:115], v[0:1], s[2:3], -v[124:125]
	v_fma_f64 v[118:119], v[0:1], s[2:3], v[124:125]
	v_fma_f64 v[0:1], v[0:1], s[6:7], v[16:17]
	v_add_f64_e32 v[16:17], v[20:21], v[30:31]
	v_add_f64_e32 v[20:21], v[24:25], v[34:35]
	;; [unrolled: 1-line block ×30, first 2 shown]
	v_lshlrev_b32_e32 v10, 7, v149
	s_delay_alu instid0(VALU_DEP_1)
	v_add3_u32 v10, v153, v10, v150
	ds_store_2addr_b64 v10, v[14:15], v[20:21] offset0:4 offset1:5
	ds_store_2addr_b64 v10, v[24:25], v[30:31] offset0:6 offset1:7
	;; [unrolled: 1-line block ×6, first 2 shown]
	ds_store_2addr_b64 v10, v[2:3], v[8:9] offset1:1
	ds_store_2addr_b64 v10, v[12:13], v[6:7] offset0:2 offset1:3
	ds_store_b64 v10, v[32:33] offset:128
.LBB0_18:
	s_or_b32 exec_lo, exec_lo, s33
	v_add_nc_u32_e32 v0, 0x800, v152
	global_wb scope:SCOPE_SE
	s_wait_dscnt 0x0
	s_barrier_signal -1
	s_barrier_wait -1
	global_inv scope:SCOPE_SE
	v_add_nc_u32_e32 v1, 0xc00, v152
	ds_load_b64 v[30:31], v151
	ds_load_2addr_b64 v[20:23], v0 offset0:16 offset1:101
	v_add_nc_u32_e32 v0, 0x1800, v152
	v_add_nc_u32_e32 v2, 0x1c00, v152
	;; [unrolled: 1-line block ×4, first 2 shown]
	ds_load_2addr_b64 v[16:19], v1 offset0:58 offset1:160
	ds_load_2addr_b64 v[24:27], v0 offset0:48 offset1:133
	;; [unrolled: 1-line block ×6, first 2 shown]
                                        ; implicit-def: $vgpr34_vgpr35
                                        ; implicit-def: $vgpr36_vgpr37
                                        ; implicit-def: $vgpr38_vgpr39
	s_and_saveexec_b32 s1, s0
	s_cbranch_execz .LBB0_20
; %bb.19:
	ds_load_b64 v[28:29], v152 offset:2040
	ds_load_b64 v[32:33], v152 offset:4216
	;; [unrolled: 1-line block ×5, first 2 shown]
.LBB0_20:
	s_wait_alu 0xfffe
	s_or_b32 exec_lo, exec_lo, s1
	v_add_nc_u16 v40, v149, 0x55
	v_and_b32_e32 v41, 0xff, v149
	v_add_nc_u16 v42, v149, 0xaa
	s_mov_b32 s2, 0x134454ff
	s_mov_b32 s3, 0xbfee6f0e
	v_and_b32_e32 v43, 0xff, v40
	v_mul_lo_u16 v41, 0xf1, v41
	v_and_b32_e32 v44, 0xff, v42
	s_mov_b32 s7, 0x3fee6f0e
	s_wait_alu 0xfffe
	s_mov_b32 s6, s2
	v_mul_lo_u16 v43, 0xf1, v43
	v_lshrrev_b16 v185, 12, v41
	v_mul_lo_u16 v41, 0xf1, v44
	s_mov_b32 s12, 0x4755a5e
	s_mov_b32 s13, 0xbfe2cf23
	v_lshrrev_b16 v186, 12, v43
	v_mul_lo_u16 v43, v185, 17
	v_lshrrev_b16 v187, 12, v41
	s_mov_b32 s15, 0x3fe2cf23
	s_wait_alu 0xfffe
	s_mov_b32 s14, s12
	v_mul_lo_u16 v41, v186, 17
	v_sub_nc_u16 v43, v149, v43
	v_mul_lo_u16 v44, v187, 17
	s_mov_b32 s16, 0x372fe950
	s_mov_b32 s17, 0x3fd3c6ef
	v_sub_nc_u16 v40, v40, v41
	v_and_b32_e32 v188, 0xff, v43
	v_sub_nc_u16 v41, v42, v44
	s_delay_alu instid0(VALU_DEP_3) | instskip(NEXT) | instid1(VALU_DEP_3)
	v_and_b32_e32 v189, 0xff, v40
	v_lshlrev_b32_e32 v44, 6, v188
	s_delay_alu instid0(VALU_DEP_3)
	v_and_b32_e32 v190, 0xff, v41
	s_clause 0x3
	global_load_b128 v[110:113], v44, s[4:5] offset:16
	global_load_b128 v[40:43], v44, s[4:5]
	global_load_b128 v[114:117], v44, s[4:5] offset:48
	global_load_b128 v[118:121], v44, s[4:5] offset:32
	v_lshlrev_b32_e32 v45, 6, v189
	v_lshlrev_b32_e32 v44, 6, v190
	s_clause 0x7
	global_load_b128 v[122:125], v45, s[4:5]
	global_load_b128 v[126:129], v45, s[4:5] offset:16
	global_load_b128 v[130:133], v45, s[4:5] offset:32
	;; [unrolled: 1-line block ×3, first 2 shown]
	global_load_b128 v[138:141], v44, s[4:5]
	global_load_b128 v[142:145], v44, s[4:5] offset:16
	global_load_b128 v[153:156], v44, s[4:5] offset:32
	;; [unrolled: 1-line block ×3, first 2 shown]
	v_add_nc_u32_e32 v44, 0xff, v149
	s_delay_alu instid0(VALU_DEP_1) | instskip(NEXT) | instid1(VALU_DEP_1)
	v_and_b32_e32 v45, 0xffff, v44
	v_mul_u32_u24_e32 v45, 0xf0f1, v45
	s_delay_alu instid0(VALU_DEP_1) | instskip(NEXT) | instid1(VALU_DEP_1)
	v_lshrrev_b32_e32 v45, 20, v45
	v_mul_lo_u16 v45, v45, 17
	s_delay_alu instid0(VALU_DEP_1) | instskip(NEXT) | instid1(VALU_DEP_1)
	v_sub_nc_u16 v44, v44, v45
	v_and_b32_e32 v191, 0xffff, v44
	s_delay_alu instid0(VALU_DEP_1)
	v_lshlrev_b32_e32 v44, 6, v191
	s_clause 0x3
	global_load_b128 v[161:164], v44, s[4:5]
	global_load_b128 v[165:168], v44, s[4:5] offset:16
	global_load_b128 v[169:172], v44, s[4:5] offset:32
	;; [unrolled: 1-line block ×3, first 2 shown]
	global_wb scope:SCOPE_SE
	s_wait_loadcnt_dscnt 0x0
	s_barrier_signal -1
	s_barrier_wait -1
	global_inv scope:SCOPE_SE
	v_mul_f64_e32 v[46:47], v[18:19], v[112:113]
	v_mul_f64_e32 v[44:45], v[20:21], v[42:43]
	;; [unrolled: 1-line block ×24, first 2 shown]
	v_fma_f64 v[56:57], v[74:75], v[110:111], v[46:47]
	v_fma_f64 v[54:55], v[88:89], v[40:41], v[44:45]
	v_fma_f64 v[64:65], v[78:79], v[114:115], v[50:51]
	v_fma_f64 v[58:59], v[92:93], v[118:119], v[48:49]
	v_fma_f64 v[42:43], v[84:85], v[126:127], v[60:61]
	v_fma_f64 v[48:49], v[94:95], v[130:131], v[62:63]
	v_fma_f64 v[46:47], v[90:91], v[122:123], v[52:53]
	v_fma_f64 v[60:61], v[80:81], v[134:135], v[66:67]
	v_fma_f64 v[44:45], v[86:87], v[142:143], v[177:178]
	v_fma_f64 v[52:53], v[76:77], v[153:154], v[179:180]
	v_fma_f64 v[50:51], v[72:73], v[138:139], v[146:147]
	v_fma_f64 v[62:63], v[82:83], v[157:158], v[181:182]
	v_fma_f64 v[40:41], v[20:21], v[40:41], -v[183:184]
	v_fma_f64 v[20:21], v[18:19], v[110:111], -v[112:113]
	;; [unrolled: 1-line block ×12, first 2 shown]
	v_mul_f64_e32 v[142:143], v[32:33], v[163:164]
	v_mul_f64_e32 v[144:145], v[100:101], v[163:164]
	;; [unrolled: 1-line block ×7, first 2 shown]
	v_add_f64_e32 v[80:81], v[108:109], v[54:55]
	v_add_f64_e32 v[66:67], v[54:55], v[64:65]
	v_add_f64_e32 v[26:27], v[56:57], v[58:59]
	v_add_f64_e64 v[110:111], v[56:57], -v[54:55]
	v_add_f64_e32 v[72:73], v[42:43], v[48:49]
	v_add_f64_e32 v[86:87], v[68:69], v[46:47]
	v_add_f64_e32 v[74:75], v[46:47], v[60:61]
	v_add_f64_e64 v[112:113], v[58:59], -v[64:65]
	;; [unrolled: 4-line block ×3, first 2 shown]
	v_add_f64_e64 v[116:117], v[60:61], -v[48:49]
	v_add_f64_e64 v[84:85], v[20:21], -v[18:19]
	;; [unrolled: 1-line block ×12, first 2 shown]
	v_fma_f64 v[38:39], v[38:39], v[165:166], -v[153:154]
	v_add_f64_e32 v[80:81], v[80:81], v[56:57]
	v_fma_f64 v[66:67], v[66:67], -0.5, v[108:109]
	v_fma_f64 v[26:27], v[26:27], -0.5, v[108:109]
	v_add_f64_e64 v[108:109], v[64:65], -v[58:59]
	v_fma_f64 v[72:73], v[72:73], -0.5, v[68:69]
	v_add_f64_e32 v[86:87], v[86:87], v[42:43]
	v_fma_f64 v[68:69], v[74:75], -0.5, v[68:69]
	v_add_f64_e64 v[74:75], v[14:15], -v[4:5]
	v_fma_f64 v[76:77], v[76:77], -0.5, v[70:71]
	v_add_f64_e32 v[88:89], v[88:89], v[44:45]
	v_fma_f64 v[70:71], v[78:79], -0.5, v[70:71]
	v_add_f64_e64 v[78:79], v[54:55], -v[56:57]
	v_add_f64_e32 v[80:81], v[80:81], v[58:59]
	v_fma_f64 v[132:133], v[84:85], s[6:7], v[66:67]
	v_fma_f64 v[130:131], v[82:83], s[2:3], v[26:27]
	;; [unrolled: 1-line block ×12, first 2 shown]
	v_add_f64_e32 v[78:79], v[78:79], v[108:109]
	v_add_f64_e32 v[108:109], v[110:111], v[112:113]
	;; [unrolled: 1-line block ×7, first 2 shown]
	v_mul_f64_e32 v[128:129], v[102:103], v[175:176]
	v_add_f64_e32 v[114:115], v[122:123], v[124:125]
	v_fma_f64 v[118:119], v[84:85], s[12:13], v[130:131]
	s_wait_alu 0xfffe
	v_fma_f64 v[26:27], v[84:85], s[14:15], v[26:27]
	v_fma_f64 v[84:85], v[82:83], s[12:13], v[132:133]
	;; [unrolled: 1-line block ×12, first 2 shown]
	v_fma_f64 v[66:67], v[32:33], v[161:162], -v[144:145]
	v_fma_f64 v[70:71], v[106:107], v[165:166], v[146:147]
	v_fma_f64 v[72:73], v[104:105], v[169:170], v[155:156]
	v_fma_f64 v[32:33], v[36:37], v[169:170], -v[157:158]
	v_fma_f64 v[74:75], v[102:103], v[173:174], v[159:160]
	v_add_f64_e32 v[36:37], v[80:81], v[64:65]
	v_add_f64_e32 v[80:81], v[86:87], v[60:61]
	;; [unrolled: 1-line block ×3, first 2 shown]
	v_fma_f64 v[34:35], v[34:35], v[173:174], -v[128:129]
	v_fma_f64 v[88:89], v[78:79], s[16:17], v[118:119]
	v_fma_f64 v[26:27], v[78:79], s[16:17], v[26:27]
	;; [unrolled: 1-line block ×12, first 2 shown]
	v_and_b32_e32 v76, 0xffff, v185
	v_and_b32_e32 v77, 0xffff, v186
	;; [unrolled: 1-line block ×3, first 2 shown]
	v_lshlrev_b32_e32 v79, 3, v188
	v_lshlrev_b32_e32 v111, 3, v190
	v_mad_u32_u24 v76, 0x2a8, v76, 0
	v_mad_u32_u24 v110, 0x2a8, v77, 0
	v_mad_u32_u24 v78, 0x2a8, v78, 0
	s_delay_alu instid0(VALU_DEP_3) | instskip(SKIP_2) | instid1(VALU_DEP_4)
	v_add3_u32 v77, v76, v79, v150
	v_lshlrev_b32_e32 v79, 3, v189
	v_lshlrev_b32_e32 v76, 3, v191
	v_add3_u32 v78, v78, v111, v150
	s_delay_alu instid0(VALU_DEP_3)
	v_add3_u32 v79, v110, v79, v150
	ds_store_2addr_b64 v77, v[36:37], v[88:89] offset1:17
	ds_store_2addr_b64 v77, v[84:85], v[82:83] offset0:34 offset1:51
	ds_store_b64 v77, v[26:27] offset:544
	ds_store_2addr_b64 v79, v[80:81], v[100:101] offset1:17
	ds_store_2addr_b64 v79, v[102:103], v[90:91] offset0:34 offset1:51
	ds_store_b64 v79, v[92:93] offset:544
	;; [unrolled: 3-line block ×3, first 2 shown]
	s_and_saveexec_b32 s1, s0
	s_cbranch_execz .LBB0_22
; %bb.21:
	v_add_f64_e32 v[36:37], v[70:71], v[72:73]
	v_add_f64_e32 v[26:27], v[68:69], v[74:75]
	v_add_f64_e64 v[80:81], v[66:67], -v[34:35]
	v_add_f64_e32 v[84:85], v[98:99], v[68:69]
	v_add_f64_e64 v[82:83], v[38:39], -v[32:33]
	v_add_f64_e64 v[86:87], v[70:71], -v[68:69]
	;; [unrolled: 1-line block ×5, first 2 shown]
	v_fma_f64 v[36:37], v[36:37], -0.5, v[98:99]
	v_fma_f64 v[26:27], v[26:27], -0.5, v[98:99]
	v_add_f64_e32 v[84:85], v[84:85], v[70:71]
	v_add_f64_e32 v[86:87], v[86:87], v[88:89]
	;; [unrolled: 1-line block ×3, first 2 shown]
	v_fma_f64 v[98:99], v[80:81], s[2:3], v[36:37]
	v_fma_f64 v[94:95], v[82:83], s[2:3], v[26:27]
	v_fma_f64 v[26:27], v[82:83], s[6:7], v[26:27]
	v_fma_f64 v[36:37], v[80:81], s[6:7], v[36:37]
	v_add_f64_e32 v[84:85], v[84:85], v[72:73]
	v_fma_f64 v[92:93], v[82:83], s[12:13], v[98:99]
	v_fma_f64 v[90:91], v[80:81], s[14:15], v[94:95]
	;; [unrolled: 1-line block ×4, first 2 shown]
	v_add_f64_e32 v[80:81], v[84:85], v[74:75]
	v_fma_f64 v[84:85], v[88:89], s[16:17], v[92:93]
	v_fma_f64 v[82:83], v[86:87], s[16:17], v[90:91]
	;; [unrolled: 1-line block ×4, first 2 shown]
	v_add3_u32 v86, 0, v76, v150
	s_delay_alu instid0(VALU_DEP_1)
	v_add_nc_u32_e32 v87, 0x2400, v86
	v_add_nc_u32_e32 v88, 0x2800, v86
	ds_store_2addr_b64 v87, v[80:81], v[84:85] offset0:123 offset1:140
	ds_store_2addr_b64 v88, v[26:27], v[82:83] offset0:29 offset1:46
	ds_store_b64 v86, v[36:37] offset:10744
.LBB0_22:
	s_wait_alu 0xfffe
	s_or_b32 exec_lo, exec_lo, s1
	v_add_f64_e32 v[26:27], v[20:21], v[18:19]
	v_add_f64_e32 v[36:37], v[40:41], v[6:7]
	;; [unrolled: 1-line block ×7, first 2 shown]
	v_add_f64_e64 v[54:55], v[54:55], -v[64:65]
	v_add_f64_e64 v[56:57], v[56:57], -v[58:59]
	v_add_f64_e32 v[58:59], v[0:1], v[24:25]
	v_add_f64_e32 v[64:65], v[2:3], v[16:17]
	v_add_f64_e64 v[46:47], v[46:47], -v[60:61]
	v_add_f64_e64 v[44:45], v[44:45], -v[52:53]
	;; [unrolled: 1-line block ×7, first 2 shown]
	global_wb scope:SCOPE_SE
	s_wait_dscnt 0x0
	s_barrier_signal -1
	s_barrier_wait -1
	global_inv scope:SCOPE_SE
	v_fma_f64 v[26:27], v[26:27], -0.5, v[30:31]
	v_fma_f64 v[30:31], v[36:37], -0.5, v[30:31]
	v_add_f64_e64 v[36:37], v[42:43], -v[48:49]
	v_fma_f64 v[42:43], v[80:81], -0.5, v[0:1]
	v_fma_f64 v[0:1], v[82:83], -0.5, v[0:1]
	v_add_f64_e64 v[48:49], v[50:51], -v[62:63]
	;; [unrolled: 3-line block ×3, first 2 shown]
	v_add_f64_e64 v[24:25], v[22:23], -v[24:25]
	v_add_f64_e64 v[86:87], v[16:17], -v[14:15]
	;; [unrolled: 1-line block ×3, first 2 shown]
	v_add_f64_e32 v[20:21], v[88:89], v[20:21]
	v_add_f64_e32 v[22:23], v[58:59], v[22:23]
	;; [unrolled: 1-line block ×3, first 2 shown]
	v_add_f64_e64 v[62:63], v[18:19], -v[6:7]
	v_add_f64_e64 v[82:83], v[8:9], -v[12:13]
	;; [unrolled: 1-line block ×3, first 2 shown]
	v_add_f64_e32 v[52:53], v[52:53], v[60:61]
	v_fma_f64 v[58:59], v[54:55], s[6:7], v[26:27]
	v_fma_f64 v[26:27], v[54:55], s[2:3], v[26:27]
	;; [unrolled: 1-line block ×12, first 2 shown]
	v_add_f64_e32 v[18:19], v[20:21], v[18:19]
	v_add_f64_e32 v[12:13], v[22:23], v[12:13]
	v_add_f64_e32 v[4:5], v[14:15], v[4:5]
	v_add_f64_e32 v[40:41], v[40:41], v[62:63]
	v_add_f64_e32 v[60:61], v[80:81], v[82:83]
	v_add_f64_e32 v[24:25], v[24:25], v[84:85]
	v_add_f64_e32 v[62:63], v[86:87], v[90:91]
	v_add_f64_e32 v[16:17], v[16:17], v[92:93]
	v_fma_f64 v[14:15], v[56:57], s[14:15], v[58:59]
	v_fma_f64 v[20:21], v[56:57], s[12:13], v[26:27]
	;; [unrolled: 1-line block ×12, first 2 shown]
	v_add_f64_e32 v[48:49], v[18:19], v[6:7]
	v_add_f64_e32 v[50:51], v[12:13], v[8:9]
	;; [unrolled: 1-line block ×3, first 2 shown]
	v_add_nc_u32_e32 v4, 0x400, v152
	v_add_nc_u32_e32 v5, 0x800, v152
	;; [unrolled: 1-line block ×4, first 2 shown]
	v_fma_f64 v[58:59], v[52:53], s[16:17], v[14:15]
	v_fma_f64 v[52:53], v[52:53], s[16:17], v[20:21]
	;; [unrolled: 1-line block ×12, first 2 shown]
	v_add_nc_u32_e32 v16, 0x1800, v152
	v_add_nc_u32_e32 v24, 0x2000, v152
	ds_load_2addr_b64 v[0:3], v152 offset0:85 offset1:170
	ds_load_b64 v[30:31], v151
	ds_load_b64 v[36:37], v152 offset:10200
	ds_load_2addr_b64 v[12:15], v4 offset0:127 offset1:212
	ds_load_2addr_b64 v[20:23], v5 offset0:169 offset1:254
	;; [unrolled: 1-line block ×6, first 2 shown]
	global_wb scope:SCOPE_SE
	s_wait_dscnt 0x0
	s_barrier_signal -1
	s_barrier_wait -1
	global_inv scope:SCOPE_SE
	ds_store_2addr_b64 v77, v[48:49], v[58:59] offset1:17
	ds_store_2addr_b64 v77, v[64:65], v[40:41] offset0:34 offset1:51
	ds_store_b64 v77, v[52:53] offset:544
	ds_store_2addr_b64 v79, v[50:51], v[80:81] offset1:17
	ds_store_2addr_b64 v79, v[42:43], v[82:83] offset0:34 offset1:51
	ds_store_b64 v79, v[60:61] offset:544
	;; [unrolled: 3-line block ×3, first 2 shown]
	s_and_saveexec_b32 s1, s0
	s_cbranch_execz .LBB0_24
; %bb.23:
	v_add_f64_e32 v[40:41], v[38:39], v[32:33]
	v_add_f64_e32 v[42:43], v[66:67], v[34:35]
	;; [unrolled: 1-line block ×3, first 2 shown]
	v_add_f64_e64 v[46:47], v[68:69], -v[74:75]
	v_add_f64_e64 v[48:49], v[70:71], -v[72:73]
	s_mov_b32 s2, 0x134454ff
	s_mov_b32 s3, 0x3fee6f0e
	;; [unrolled: 1-line block ×3, first 2 shown]
	s_wait_alu 0xfffe
	s_mov_b32 s6, s2
	v_add_f64_e64 v[50:51], v[34:35], -v[32:33]
	v_add_f64_e64 v[52:53], v[38:39], -v[66:67]
	;; [unrolled: 1-line block ×3, first 2 shown]
	v_fma_f64 v[40:41], v[40:41], -0.5, v[28:29]
	v_fma_f64 v[28:29], v[42:43], -0.5, v[28:29]
	v_add_f64_e64 v[42:43], v[66:67], -v[38:39]
	v_add_f64_e32 v[38:39], v[44:45], v[38:39]
	s_delay_alu instid0(VALU_DEP_4) | instskip(SKIP_1) | instid1(VALU_DEP_4)
	v_fma_f64 v[44:45], v[46:47], s[2:3], v[40:41]
	s_wait_alu 0xfffe
	v_fma_f64 v[56:57], v[48:49], s[6:7], v[28:29]
	v_fma_f64 v[28:29], v[48:49], s[2:3], v[28:29]
	;; [unrolled: 1-line block ×3, first 2 shown]
	s_mov_b32 s2, 0x4755a5e
	s_mov_b32 s3, 0x3fe2cf23
	;; [unrolled: 1-line block ×3, first 2 shown]
	s_wait_alu 0xfffe
	s_mov_b32 s6, s2
	v_add_f64_e32 v[42:43], v[42:43], v[50:51]
	v_add_f64_e32 v[32:33], v[38:39], v[32:33]
	;; [unrolled: 1-line block ×3, first 2 shown]
	v_fma_f64 v[38:39], v[48:49], s[2:3], v[44:45]
	v_fma_f64 v[44:45], v[46:47], s[2:3], v[56:57]
	s_wait_alu 0xfffe
	v_fma_f64 v[28:29], v[46:47], s[6:7], v[28:29]
	v_fma_f64 v[40:41], v[48:49], s[6:7], v[40:41]
	s_mov_b32 s2, 0x372fe950
	s_mov_b32 s3, 0x3fd3c6ef
	v_add_f64_e32 v[32:33], v[32:33], v[34:35]
	s_wait_alu 0xfffe
	v_fma_f64 v[34:35], v[42:43], s[2:3], v[38:39]
	v_fma_f64 v[38:39], v[50:51], s[2:3], v[44:45]
	;; [unrolled: 1-line block ×4, first 2 shown]
	v_add3_u32 v42, 0, v76, v150
	s_delay_alu instid0(VALU_DEP_1)
	v_add_nc_u32_e32 v43, 0x2400, v42
	v_add_nc_u32_e32 v44, 0x2800, v42
	ds_store_2addr_b64 v43, v[32:33], v[34:35] offset0:123 offset1:140
	ds_store_2addr_b64 v44, v[38:39], v[28:29] offset0:29 offset1:46
	ds_store_b64 v42, v[40:41] offset:10744
.LBB0_24:
	s_wait_alu 0xfffe
	s_or_b32 exec_lo, exec_lo, s1
	global_wb scope:SCOPE_SE
	s_wait_dscnt 0x0
	s_barrier_signal -1
	s_barrier_wait -1
	global_inv scope:SCOPE_SE
	s_and_saveexec_b32 s0, vcc_lo
	s_cbranch_execz .LBB0_26
; %bb.25:
	v_mul_u32_u24_e32 v28, 15, v149
	v_add_nc_u32_e32 v29, 0x400, v152
	v_add_nc_u32_e32 v94, 0x1800, v152
	;; [unrolled: 1-line block ×4, first 2 shown]
	v_lshlrev_b32_e32 v28, 4, v28
	s_mov_b32 s0, 0x667f3bcd
	s_mov_b32 s1, 0x3fe6a09e
	;; [unrolled: 1-line block ×3, first 2 shown]
	s_wait_alu 0xfffe
	s_mov_b32 s6, s0
	s_clause 0xe
	global_load_b128 v[32:35], v28, s[4:5] offset:1200
	global_load_b128 v[38:41], v28, s[4:5] offset:1136
	;; [unrolled: 1-line block ×15, first 2 shown]
	v_add_nc_u32_e32 v28, 0x1400, v152
	s_mov_b32 s2, 0xcf328d46
	s_mov_b32 s3, 0x3fed906b
	ds_load_2addr_b64 v[98:101], v152 offset0:85 offset1:170
	ds_load_2addr_b64 v[102:105], v28 offset0:125 offset1:210
	v_add_nc_u32_e32 v28, 0x1000, v152
	s_mov_b32 s15, 0xbfed906b
	s_wait_alu 0xfffe
	s_mov_b32 s14, s2
	ds_load_2addr_b64 v[106:109], v28 offset0:83 offset1:168
	ds_load_2addr_b64 v[110:113], v29 offset0:127 offset1:212
	;; [unrolled: 1-line block ×5, first 2 shown]
	ds_load_b64 v[155:156], v152 offset:10200
	s_mov_b32 s4, 0xa6aea964
	s_mov_b32 s5, 0xbfd87de2
	;; [unrolled: 1-line block ×4, first 2 shown]
	s_wait_loadcnt 0xe
	v_mul_f64_e32 v[28:29], v[6:7], v[34:35]
	s_wait_loadcnt 0xd
	v_mul_f64_e32 v[94:95], v[14:15], v[38:39]
	;; [unrolled: 2-line block ×7, first 2 shown]
	s_wait_dscnt 0x7
	v_mul_f64_e32 v[48:49], v[100:101], v[48:49]
	s_wait_dscnt 0x6
	v_mul_f64_e32 v[52:53], v[104:105], v[52:53]
	v_mul_f64_e32 v[22:23], v[22:23], v[56:57]
	;; [unrolled: 1-line block ×5, first 2 shown]
	s_wait_dscnt 0x5
	v_mul_f64_e32 v[34:35], v[108:109], v[34:35]
	s_wait_loadcnt 0x7
	v_mul_f64_e32 v[136:137], v[0:1], v[64:65]
	s_wait_loadcnt 0x6
	;; [unrolled: 2-line block ×8, first 2 shown]
	v_mul_f64_e32 v[153:154], v[36:37], v[90:91]
	s_wait_dscnt 0x4
	v_mul_f64_e32 v[80:81], v[110:111], v[80:81]
	s_wait_dscnt 0x3
	v_mul_f64_e32 v[84:85], v[114:115], v[84:85]
	v_mul_f64_e32 v[4:5], v[4:5], v[88:89]
	;; [unrolled: 1-line block ×7, first 2 shown]
	v_fma_f64 v[28:29], v[108:109], v[32:33], -v[28:29]
	v_fma_f64 v[40:41], v[112:113], v[40:41], v[94:95]
	v_fma_f64 v[44:45], v[116:117], v[44:45], v[126:127]
	v_fma_f64 v[94:95], v[100:101], v[46:47], -v[128:129]
	v_fma_f64 v[100:101], v[104:105], v[50:51], -v[130:131]
	s_wait_dscnt 0x2
	v_fma_f64 v[56:57], v[120:121], v[56:57], v[132:133]
	s_wait_dscnt 0x1
	v_fma_f64 v[60:61], v[124:125], v[60:61], v[134:135]
	v_fma_f64 v[2:3], v[2:3], v[46:47], v[48:49]
	;; [unrolled: 1-line block ×3, first 2 shown]
	v_fma_f64 v[22:23], v[120:121], v[54:55], -v[22:23]
	v_fma_f64 v[26:27], v[124:125], v[58:59], -v[26:27]
	;; [unrolled: 1-line block ×4, first 2 shown]
	v_fma_f64 v[6:7], v[6:7], v[32:33], v[34:35]
	ds_load_b64 v[32:33], v151
	v_fma_f64 v[46:47], v[98:99], v[62:63], -v[136:137]
	v_fma_f64 v[48:49], v[102:103], v[66:67], -v[138:139]
	v_fma_f64 v[50:51], v[118:119], v[72:73], v[140:141]
	v_fma_f64 v[52:53], v[122:123], v[76:77], v[142:143]
	v_fma_f64 v[54:55], v[110:111], v[78:79], -v[144:145]
	v_fma_f64 v[58:59], v[114:115], v[82:83], -v[146:147]
	v_fma_f64 v[72:73], v[106:107], v[88:89], v[149:150]
	v_fma_f64 v[12:13], v[12:13], v[78:79], v[80:81]
	;; [unrolled: 1-line block ×3, first 2 shown]
	v_fma_f64 v[4:5], v[106:107], v[86:87], -v[4:5]
	s_wait_dscnt 0x1
	v_fma_f64 v[36:37], v[155:156], v[90:91], -v[36:37]
	v_fma_f64 v[0:1], v[0:1], v[62:63], v[64:65]
	v_fma_f64 v[8:9], v[8:9], v[66:67], v[68:69]
	v_fma_f64 v[20:21], v[118:119], v[70:71], -v[20:21]
	v_fma_f64 v[24:25], v[122:123], v[74:75], -v[24:25]
	v_fma_f64 v[76:77], v[155:156], v[92:93], v[153:154]
	v_lshlrev_b64_e32 v[62:63], 4, v[96:97]
	v_add_nc_u32_e32 v113, 0x55, v148
	v_add_nc_u32_e32 v115, 0xaa, v148
	;; [unrolled: 1-line block ×5, first 2 shown]
	v_add_co_u32 v137, vcc_lo, s10, v62
	s_wait_dscnt 0x0
	v_add_f64_e64 v[28:29], v[32:33], -v[28:29]
	v_add_f64_e64 v[34:35], v[40:41], -v[44:45]
	s_wait_alu 0xfffd
	v_add_co_ci_u32_e32 v138, vcc_lo, s11, v63, vcc_lo
	v_add_f64_e64 v[38:39], v[94:95], -v[100:101]
	v_add_f64_e64 v[42:43], v[56:57], -v[60:61]
	v_mad_co_u64_u32 v[60:61], null, s8, v148, 0
	v_add_f64_e64 v[10:11], v[2:3], -v[10:11]
	v_add_f64_e64 v[26:27], v[22:23], -v[26:27]
	v_mad_co_u64_u32 v[82:83], null, s8, v113, 0
	;; [unrolled: 3-line block ×4, first 2 shown]
	v_add_f64_e64 v[52:53], v[54:55], -v[58:59]
	v_add_nc_u32_e32 v121, 0x2a8, v148
	v_add_f64_e64 v[16:17], v[12:13], -v[16:17]
	v_add_nc_u32_e32 v123, 0x352, v148
	;; [unrolled: 2-line block ×3, first 2 shown]
	v_add_f64_e64 v[8:9], v[0:1], -v[8:9]
	v_add_f64_e64 v[24:25], v[20:21], -v[24:25]
	;; [unrolled: 1-line block ×3, first 2 shown]
	v_fma_f64 v[32:33], v[32:33], 2.0, -v[28:29]
	v_add_f64_e64 v[64:65], v[28:29], -v[34:35]
	v_fma_f64 v[34:35], v[40:41], 2.0, -v[34:35]
	v_add_f64_e64 v[66:67], v[38:39], -v[42:43]
	v_fma_f64 v[2:3], v[2:3], 2.0, -v[10:11]
	v_add_f64_e32 v[68:69], v[10:11], v[26:27]
	v_fma_f64 v[22:23], v[22:23], 2.0, -v[26:27]
	v_fma_f64 v[14:15], v[14:15], 2.0, -v[18:19]
	v_add_f64_e32 v[80:81], v[6:7], v[18:19]
	v_fma_f64 v[18:19], v[56:57], 2.0, -v[42:43]
	v_fma_f64 v[30:31], v[30:31], 2.0, -v[6:7]
	;; [unrolled: 1-line block ×3, first 2 shown]
	v_add_f64_e64 v[70:71], v[44:45], -v[48:49]
	v_fma_f64 v[46:47], v[50:51], 2.0, -v[48:49]
	v_fma_f64 v[48:49], v[94:95], 2.0, -v[38:39]
	;; [unrolled: 1-line block ×3, first 2 shown]
	v_mad_co_u64_u32 v[94:95], null, s8, v127, 0
	v_fma_f64 v[12:13], v[12:13], 2.0, -v[16:17]
	v_add_f64_e32 v[76:77], v[16:17], v[36:37]
	v_fma_f64 v[4:5], v[4:5], 2.0, -v[36:37]
	v_fma_f64 v[0:1], v[0:1], 2.0, -v[8:9]
	v_add_nc_u32_e32 v118, 0x1a9, v148
	v_add_f64_e32 v[78:79], v[8:9], v[24:25]
	v_add_f64_e64 v[74:75], v[52:53], -v[58:59]
	v_fma_f64 v[20:21], v[20:21], 2.0, -v[24:25]
	v_fma_f64 v[24:25], v[72:73], 2.0, -v[58:59]
	v_mad_co_u64_u32 v[90:91], null, s8, v118, 0
	v_mad_co_u64_u32 v[36:37], null, s8, v119, 0
	;; [unrolled: 1-line block ×4, first 2 shown]
	v_fma_f64 v[28:29], v[28:29], 2.0, -v[64:65]
	v_fma_f64 v[38:39], v[38:39], 2.0, -v[66:67]
	v_fma_f64 v[98:99], v[66:67], s[0:1], v[64:65]
	v_fma_f64 v[10:11], v[10:11], 2.0, -v[68:69]
	v_add_f64_e64 v[14:15], v[32:33], -v[14:15]
	v_fma_f64 v[6:7], v[6:7], 2.0, -v[80:81]
	v_add_f64_e64 v[18:19], v[2:3], -v[18:19]
	v_fma_f64 v[111:112], v[68:69], s[0:1], v[80:81]
	v_add_f64_e64 v[34:35], v[30:31], -v[34:35]
	v_fma_f64 v[44:45], v[44:45], 2.0, -v[70:71]
	v_add_f64_e64 v[22:23], v[48:49], -v[22:23]
	v_fma_f64 v[16:17], v[16:17], 2.0, -v[76:77]
	v_add_f64_e64 v[4:5], v[26:27], -v[4:5]
	v_add_f64_e64 v[46:47], v[0:1], -v[46:47]
	v_fma_f64 v[62:63], v[76:77], s[0:1], v[78:79]
	v_fma_f64 v[50:51], v[52:53], 2.0, -v[74:75]
	v_fma_f64 v[8:9], v[8:9], 2.0, -v[78:79]
	v_add_f64_e64 v[24:25], v[12:13], -v[24:25]
	v_add_f64_e64 v[20:21], v[42:43], -v[20:21]
	v_fma_f64 v[100:101], v[74:75], s[0:1], v[70:71]
	v_mad_co_u64_u32 v[52:53], null, s8, v121, 0
	v_fma_f64 v[68:69], v[68:69], s[6:7], v[98:99]
	v_fma_f64 v[32:33], v[32:33], 2.0, -v[14:15]
	v_fma_f64 v[109:110], v[10:11], s[6:7], v[6:7]
	v_fma_f64 v[2:3], v[2:3], 2.0, -v[18:19]
	v_add_f64_e64 v[98:99], v[14:15], -v[18:19]
	v_fma_f64 v[30:31], v[30:31], 2.0, -v[34:35]
	v_fma_f64 v[48:49], v[48:49], 2.0, -v[22:23]
	;; [unrolled: 1-line block ×4, first 2 shown]
	v_add_f64_e32 v[4:5], v[46:47], v[4:5]
	v_mad_co_u64_u32 v[102:103], null, s9, v148, v[61:62]
	v_fma_f64 v[103:104], v[38:39], s[6:7], v[28:29]
	v_fma_f64 v[105:106], v[50:51], s[6:7], v[44:45]
	;; [unrolled: 1-line block ×3, first 2 shown]
	v_mov_b32_e32 v61, v83
	v_mov_b32_e32 v83, v85
	v_fma_f64 v[12:13], v[12:13], 2.0, -v[24:25]
	v_add_f64_e64 v[18:19], v[20:21], -v[24:25]
	v_fma_f64 v[24:25], v[74:75], s[0:1], v[62:63]
	v_mad_co_u64_u32 v[113:114], null, s9, v113, v[61:62]
	v_mad_co_u64_u32 v[114:115], null, s9, v115, v[83:84]
	v_add_nc_u32_e32 v126, 0x451, v148
	v_fma_f64 v[42:43], v[42:43], 2.0, -v[20:21]
	v_fma_f64 v[76:77], v[76:77], s[6:7], v[100:101]
	v_add_f64_e32 v[100:101], v[34:35], v[22:23]
	v_dual_mov_b32 v61, v102 :: v_dual_add_nc_u32 v122, 0x2fd, v148
	v_mad_co_u64_u32 v[92:93], null, s8, v126, 0
	v_add_nc_u32_e32 v116, 0xff, v148
	v_fma_f64 v[74:75], v[38:39], s[0:1], v[109:110]
	v_fma_f64 v[38:39], v[66:67], s[0:1], v[111:112]
	v_dual_mov_b32 v83, v113 :: v_dual_add_nc_u32 v124, 0x3a7, v148
	s_delay_alu instid0(VALU_DEP_4) | instskip(SKIP_1) | instid1(VALU_DEP_3)
	v_mad_co_u64_u32 v[86:87], null, s8, v116, 0
	v_mad_co_u64_u32 v[54:55], null, s8, v122, 0
	;; [unrolled: 1-line block ×3, first 2 shown]
	v_add_f64_e64 v[48:49], v[32:33], -v[48:49]
	v_fma_f64 v[64:65], v[64:65], 2.0, -v[68:69]
	v_mov_b32_e32 v85, v87
	v_mov_b32_e32 v87, v89
	;; [unrolled: 1-line block ×5, first 2 shown]
	v_fma_f64 v[62:63], v[10:11], s[6:7], v[103:104]
	v_fma_f64 v[16:17], v[16:17], s[6:7], v[105:106]
	;; [unrolled: 1-line block ×3, first 2 shown]
	v_mad_co_u64_u32 v[10:11], null, s9, v116, v[85:86]
	v_add_nc_u32_e32 v128, 0x4fb, v148
	v_mad_co_u64_u32 v[22:23], null, s9, v117, v[87:88]
	v_mov_b32_e32 v85, v114
	v_add_f64_e64 v[11:12], v[0:1], -v[12:13]
	v_mad_co_u64_u32 v[66:67], null, s9, v118, v[89:90]
	v_mov_b32_e32 v87, v10
	v_mad_co_u64_u32 v[96:97], null, s8, v128, 0
	v_add_nc_u32_e32 v120, 0x253, v148
	v_add_f64_e64 v[26:27], v[42:43], -v[26:27]
	v_fma_f64 v[115:116], v[14:15], 2.0, -v[98:99]
	v_fma_f64 v[20:21], v[20:21], 2.0, -v[18:19]
	v_fma_f64 v[46:47], v[46:47], 2.0, -v[4:5]
	v_fma_f64 v[70:71], v[70:71], 2.0, -v[76:77]
	v_mov_b32_e32 v95, v97
	v_mad_co_u64_u32 v[40:41], null, s8, v120, 0
	v_mad_co_u64_u32 v[103:104], null, s9, v119, v[37:38]
	v_fma_f64 v[78:79], v[78:79], 2.0, -v[24:25]
	v_fma_f64 v[80:81], v[80:81], 2.0, -v[38:39]
	v_mov_b32_e32 v89, v22
	v_fma_f64 v[22:23], v[18:19], s[0:1], v[98:99]
	v_mad_co_u64_u32 v[104:105], null, s9, v120, v[41:42]
	v_mad_co_u64_u32 v[105:106], null, s9, v121, v[53:54]
	;; [unrolled: 1-line block ×7, first 2 shown]
	v_add_f64_e64 v[111:112], v[30:31], -v[2:3]
	v_fma_f64 v[117:118], v[28:29], 2.0, -v[62:63]
	v_fma_f64 v[28:29], v[44:45], 2.0, -v[16:17]
	;; [unrolled: 1-line block ×5, first 2 shown]
	v_mad_co_u64_u32 v[2:3], null, s9, v127, v[93:94]
	v_mov_b32_e32 v41, v104
	v_mov_b32_e32 v53, v105
	;; [unrolled: 1-line block ×4, first 2 shown]
	v_fma_f64 v[9:10], v[76:77], s[2:3], v[68:69]
	v_fma_f64 v[104:105], v[32:33], 2.0, -v[48:49]
	v_fma_f64 v[32:33], v[42:43], 2.0, -v[26:27]
	v_mov_b32_e32 v59, v108
	v_mov_b32_e32 v73, v109
	;; [unrolled: 1-line block ×3, first 2 shown]
	v_fma_f64 v[102:103], v[20:21], s[6:7], v[115:116]
	v_mad_co_u64_u32 v[6:7], null, s9, v128, v[95:96]
	v_mov_b32_e32 v91, v66
	v_mov_b32_e32 v95, v2
	v_lshlrev_b64_e32 v[2:3], 4, v[82:83]
	v_fma_f64 v[13:14], v[24:25], s[2:3], v[38:39]
	v_fma_f64 v[34:35], v[4:5], s[0:1], v[100:101]
	s_wait_alu 0xfffe
	v_fma_f64 v[66:67], v[50:51], s[12:13], v[74:75]
	v_fma_f64 v[82:83], v[70:71], s[4:5], v[64:65]
	;; [unrolled: 1-line block ×3, first 2 shown]
	v_lshlrev_b64_e32 v[7:8], 4, v[60:61]
	v_fma_f64 v[60:61], v[16:17], s[12:13], v[62:63]
	v_mov_b32_e32 v97, v6
	v_lshlrev_b64_e32 v[84:85], 4, v[84:85]
	v_lshlrev_b64_e32 v[86:87], 4, v[86:87]
	;; [unrolled: 1-line block ×3, first 2 shown]
	v_add_co_u32 v133, vcc_lo, v137, v7
	s_wait_alu 0xfffd
	v_add_co_ci_u32_e32 v134, vcc_lo, v138, v8, vcc_lo
	v_fma_f64 v[106:107], v[30:31], 2.0, -v[111:112]
	v_fma_f64 v[30:31], v[0:1], 2.0, -v[11:12]
	v_fma_f64 v[42:43], v[28:29], s[14:15], v[117:118]
	v_fma_f64 v[108:109], v[44:45], s[14:15], v[119:120]
	;; [unrolled: 1-line block ×3, first 2 shown]
	v_add_co_u32 v135, vcc_lo, v137, v2
	s_wait_alu 0xfffd
	v_add_co_ci_u32_e32 v136, vcc_lo, v138, v3, vcc_lo
	v_fma_f64 v[6:7], v[4:5], s[6:7], v[22:23]
	v_lshlrev_b64_e32 v[90:91], 4, v[90:91]
	v_fma_f64 v[2:3], v[24:25], s[4:5], v[9:10]
	v_add_f64_e32 v[8:9], v[111:112], v[26:27]
	v_add_f64_e64 v[26:27], v[104:105], -v[32:33]
	v_add_f64_e64 v[10:11], v[48:49], -v[11:12]
	v_lshlrev_b64_e32 v[36:37], 4, v[36:37]
	v_lshlrev_b64_e32 v[40:41], 4, v[40:41]
	v_fma_f64 v[22:23], v[46:47], s[6:7], v[102:103]
	v_lshlrev_b64_e32 v[125:126], 4, v[52:53]
	v_lshlrev_b64_e32 v[127:128], 4, v[54:55]
	;; [unrolled: 1-line block ×4, first 2 shown]
	v_mov_b32_e32 v93, v110
	v_fma_f64 v[0:1], v[76:77], s[12:13], v[13:14]
	v_fma_f64 v[4:5], v[18:19], s[0:1], v[34:35]
	;; [unrolled: 1-line block ×5, first 2 shown]
	v_add_co_u32 v66, vcc_lo, v137, v84
	v_fma_f64 v[14:15], v[50:51], s[14:15], v[60:61]
	s_wait_alu 0xfffd
	v_add_co_ci_u32_e32 v67, vcc_lo, v138, v85, vcc_lo
	v_add_co_u32 v70, vcc_lo, v137, v86
	s_wait_alu 0xfffd
	v_add_co_ci_u32_e32 v71, vcc_lo, v138, v87, vcc_lo
	v_add_co_u32 v76, vcc_lo, v137, v88
	v_add_f64_e64 v[24:25], v[106:107], -v[30:31]
	v_fma_f64 v[30:31], v[44:45], s[4:5], v[42:43]
	v_fma_f64 v[28:29], v[28:29], s[12:13], v[108:109]
	;; [unrolled: 1-line block ×3, first 2 shown]
	s_wait_alu 0xfffd
	v_add_co_ci_u32_e32 v77, vcc_lo, v138, v89, vcc_lo
	v_add_co_u32 v78, vcc_lo, v137, v90
	s_wait_alu 0xfffd
	v_add_co_ci_u32_e32 v79, vcc_lo, v138, v91, vcc_lo
	v_add_co_u32 v82, vcc_lo, v137, v36
	v_fma_f64 v[54:55], v[104:105], 2.0, -v[26:27]
	s_wait_alu 0xfffd
	v_add_co_ci_u32_e32 v83, vcc_lo, v138, v37, vcc_lo
	v_add_co_u32 v84, vcc_lo, v137, v40
	v_fma_f64 v[42:43], v[48:49], 2.0, -v[10:11]
	v_fma_f64 v[50:51], v[115:116], 2.0, -v[22:23]
	s_wait_alu 0xfffd
	v_add_co_ci_u32_e32 v85, vcc_lo, v138, v41, vcc_lo
	v_fma_f64 v[40:41], v[111:112], 2.0, -v[8:9]
	v_fma_f64 v[32:33], v[38:39], 2.0, -v[0:1]
	v_fma_f64 v[38:39], v[98:99], 2.0, -v[6:7]
	v_fma_f64 v[60:61], v[74:75], 2.0, -v[12:13]
	v_fma_f64 v[46:47], v[64:65], 2.0, -v[18:19]
	v_fma_f64 v[44:45], v[80:81], 2.0, -v[16:17]
	v_fma_f64 v[36:37], v[100:101], 2.0, -v[4:5]
	v_fma_f64 v[34:35], v[68:69], 2.0, -v[2:3]
	v_fma_f64 v[62:63], v[62:63], 2.0, -v[14:15]
	v_add_co_u32 v64, vcc_lo, v137, v125
	s_wait_alu 0xfffd
	v_add_co_ci_u32_e32 v65, vcc_lo, v138, v126, vcc_lo
	v_add_co_u32 v68, vcc_lo, v137, v127
	s_wait_alu 0xfffd
	v_add_co_ci_u32_e32 v69, vcc_lo, v138, v128, vcc_lo
	v_fma_f64 v[52:53], v[106:107], 2.0, -v[24:25]
	v_fma_f64 v[58:59], v[117:118], 2.0, -v[30:31]
	;; [unrolled: 1-line block ×4, first 2 shown]
	v_lshlrev_b64_e32 v[72:73], 4, v[72:73]
	v_add_co_u32 v74, vcc_lo, v137, v129
	s_wait_alu 0xfffd
	v_add_co_ci_u32_e32 v75, vcc_lo, v138, v130, vcc_lo
	v_lshlrev_b64_e32 v[92:93], 4, v[92:93]
	v_add_co_u32 v80, vcc_lo, v137, v131
	s_wait_alu 0xfffd
	v_add_co_ci_u32_e32 v81, vcc_lo, v138, v132, vcc_lo
	v_lshlrev_b64_e32 v[94:95], 4, v[94:95]
	v_add_co_u32 v72, vcc_lo, v137, v72
	s_wait_alu 0xfffd
	v_add_co_ci_u32_e32 v73, vcc_lo, v138, v73, vcc_lo
	v_lshlrev_b64_e32 v[96:97], 4, v[96:97]
	v_add_co_u32 v86, vcc_lo, v137, v92
	s_wait_alu 0xfffd
	v_add_co_ci_u32_e32 v87, vcc_lo, v138, v93, vcc_lo
	v_add_co_u32 v88, vcc_lo, v137, v94
	s_wait_alu 0xfffd
	v_add_co_ci_u32_e32 v89, vcc_lo, v138, v95, vcc_lo
	v_add_co_u32 v90, vcc_lo, v137, v96
	s_wait_alu 0xfffd
	v_add_co_ci_u32_e32 v91, vcc_lo, v138, v97, vcc_lo
	s_clause 0xf
	global_store_b128 v[133:134], v[52:55], off
	global_store_b128 v[135:136], v[56:59], off
	;; [unrolled: 1-line block ×16, first 2 shown]
.LBB0_26:
	s_nop 0
	s_sendmsg sendmsg(MSG_DEALLOC_VGPRS)
	s_endpgm
	.section	.rodata,"a",@progbits
	.p2align	6, 0x0
	.amdhsa_kernel fft_rtc_back_len1360_factors_17_5_16_wgs_255_tpt_85_halfLds_dp_ip_CI_sbrr_dirReg
		.amdhsa_group_segment_fixed_size 0
		.amdhsa_private_segment_fixed_size 0
		.amdhsa_kernarg_size 88
		.amdhsa_user_sgpr_count 2
		.amdhsa_user_sgpr_dispatch_ptr 0
		.amdhsa_user_sgpr_queue_ptr 0
		.amdhsa_user_sgpr_kernarg_segment_ptr 1
		.amdhsa_user_sgpr_dispatch_id 0
		.amdhsa_user_sgpr_private_segment_size 0
		.amdhsa_wavefront_size32 1
		.amdhsa_uses_dynamic_stack 0
		.amdhsa_enable_private_segment 0
		.amdhsa_system_sgpr_workgroup_id_x 1
		.amdhsa_system_sgpr_workgroup_id_y 0
		.amdhsa_system_sgpr_workgroup_id_z 0
		.amdhsa_system_sgpr_workgroup_info 0
		.amdhsa_system_vgpr_workitem_id 0
		.amdhsa_next_free_vgpr 217
		.amdhsa_next_free_sgpr 58
		.amdhsa_reserve_vcc 1
		.amdhsa_float_round_mode_32 0
		.amdhsa_float_round_mode_16_64 0
		.amdhsa_float_denorm_mode_32 3
		.amdhsa_float_denorm_mode_16_64 3
		.amdhsa_fp16_overflow 0
		.amdhsa_workgroup_processor_mode 1
		.amdhsa_memory_ordered 1
		.amdhsa_forward_progress 0
		.amdhsa_round_robin_scheduling 0
		.amdhsa_exception_fp_ieee_invalid_op 0
		.amdhsa_exception_fp_denorm_src 0
		.amdhsa_exception_fp_ieee_div_zero 0
		.amdhsa_exception_fp_ieee_overflow 0
		.amdhsa_exception_fp_ieee_underflow 0
		.amdhsa_exception_fp_ieee_inexact 0
		.amdhsa_exception_int_div_zero 0
	.end_amdhsa_kernel
	.text
.Lfunc_end0:
	.size	fft_rtc_back_len1360_factors_17_5_16_wgs_255_tpt_85_halfLds_dp_ip_CI_sbrr_dirReg, .Lfunc_end0-fft_rtc_back_len1360_factors_17_5_16_wgs_255_tpt_85_halfLds_dp_ip_CI_sbrr_dirReg
                                        ; -- End function
	.section	.AMDGPU.csdata,"",@progbits
; Kernel info:
; codeLenInByte = 14664
; NumSgprs: 60
; NumVgprs: 217
; ScratchSize: 0
; MemoryBound: 1
; FloatMode: 240
; IeeeMode: 1
; LDSByteSize: 0 bytes/workgroup (compile time only)
; SGPRBlocks: 7
; VGPRBlocks: 27
; NumSGPRsForWavesPerEU: 60
; NumVGPRsForWavesPerEU: 217
; Occupancy: 6
; WaveLimiterHint : 1
; COMPUTE_PGM_RSRC2:SCRATCH_EN: 0
; COMPUTE_PGM_RSRC2:USER_SGPR: 2
; COMPUTE_PGM_RSRC2:TRAP_HANDLER: 0
; COMPUTE_PGM_RSRC2:TGID_X_EN: 1
; COMPUTE_PGM_RSRC2:TGID_Y_EN: 0
; COMPUTE_PGM_RSRC2:TGID_Z_EN: 0
; COMPUTE_PGM_RSRC2:TIDIG_COMP_CNT: 0
	.text
	.p2alignl 7, 3214868480
	.fill 96, 4, 3214868480
	.type	__hip_cuid_fd6feac26bbd58b7,@object ; @__hip_cuid_fd6feac26bbd58b7
	.section	.bss,"aw",@nobits
	.globl	__hip_cuid_fd6feac26bbd58b7
__hip_cuid_fd6feac26bbd58b7:
	.byte	0                               ; 0x0
	.size	__hip_cuid_fd6feac26bbd58b7, 1

	.ident	"AMD clang version 19.0.0git (https://github.com/RadeonOpenCompute/llvm-project roc-6.4.0 25133 c7fe45cf4b819c5991fe208aaa96edf142730f1d)"
	.section	".note.GNU-stack","",@progbits
	.addrsig
	.addrsig_sym __hip_cuid_fd6feac26bbd58b7
	.amdgpu_metadata
---
amdhsa.kernels:
  - .args:
      - .actual_access:  read_only
        .address_space:  global
        .offset:         0
        .size:           8
        .value_kind:     global_buffer
      - .offset:         8
        .size:           8
        .value_kind:     by_value
      - .actual_access:  read_only
        .address_space:  global
        .offset:         16
        .size:           8
        .value_kind:     global_buffer
      - .actual_access:  read_only
        .address_space:  global
        .offset:         24
        .size:           8
        .value_kind:     global_buffer
      - .offset:         32
        .size:           8
        .value_kind:     by_value
      - .actual_access:  read_only
        .address_space:  global
        .offset:         40
        .size:           8
        .value_kind:     global_buffer
      - .actual_access:  read_only
        .address_space:  global
        .offset:         48
        .size:           8
        .value_kind:     global_buffer
      - .offset:         56
        .size:           4
        .value_kind:     by_value
      - .actual_access:  read_only
        .address_space:  global
        .offset:         64
        .size:           8
        .value_kind:     global_buffer
      - .actual_access:  read_only
        .address_space:  global
        .offset:         72
        .size:           8
        .value_kind:     global_buffer
      - .address_space:  global
        .offset:         80
        .size:           8
        .value_kind:     global_buffer
    .group_segment_fixed_size: 0
    .kernarg_segment_align: 8
    .kernarg_segment_size: 88
    .language:       OpenCL C
    .language_version:
      - 2
      - 0
    .max_flat_workgroup_size: 255
    .name:           fft_rtc_back_len1360_factors_17_5_16_wgs_255_tpt_85_halfLds_dp_ip_CI_sbrr_dirReg
    .private_segment_fixed_size: 0
    .sgpr_count:     60
    .sgpr_spill_count: 0
    .symbol:         fft_rtc_back_len1360_factors_17_5_16_wgs_255_tpt_85_halfLds_dp_ip_CI_sbrr_dirReg.kd
    .uniform_work_group_size: 1
    .uses_dynamic_stack: false
    .vgpr_count:     217
    .vgpr_spill_count: 0
    .wavefront_size: 32
    .workgroup_processor_mode: 1
amdhsa.target:   amdgcn-amd-amdhsa--gfx1201
amdhsa.version:
  - 1
  - 2
...

	.end_amdgpu_metadata
